;; amdgpu-corpus repo=ROCm/aiter kind=harvested arch=n/a opt=n/a

/root/src/amdgpu-assembly/repos/ROCm__aiter/hsa/gfx950/pa/pa_fp16_pertokenInt8_gqa16_1tg_4w_mtp_msk1.co:	file format elf64-amdgpu

Disassembly of section .text:

0000000000002200 <_ZN5aiter42pa_fp16_pertokenInt8_gqa16_1tg_4w_mtp_msk1E>:
	s_and_b32 s1, s1, 0xffff                                   // 000000002200: 8601FF01 0000FFFF
	s_load_dwordx2 s[8:9], s[0:1], 0x0                         // 000000002208: C0060200 00000000
	s_load_dwordx2 s[12:13], s[0:1], 0x10                      // 000000002210: C0060300 00000010
	s_load_dwordx2 s[16:17], s[0:1], 0x20                      // 000000002218: C0060400 00000020
	s_load_dwordx2 s[20:21], s[0:1], 0x30                      // 000000002220: C0060500 00000030
	s_load_dwordx2 s[24:25], s[0:1], 0x40                      // 000000002228: C0060600 00000040
	s_load_dwordx2 s[28:29], s[0:1], 0x50                      // 000000002230: C0060700 00000050
	s_load_dwordx2 s[32:33], s[0:1], 0x60                      // 000000002238: C0060800 00000060
	s_load_dwordx2 s[36:37], s[0:1], 0x70                      // 000000002240: C0060900 00000070
	s_load_dword s64, s[0:1], 0x80                             // 000000002248: C0021000 00000080
	s_load_dword s65, s[0:1], 0x90                             // 000000002250: C0021040 00000090
	s_load_dword s66, s[0:1], 0xa0                             // 000000002258: C0021080 000000A0
	s_load_dword s74, s[0:1], 0xb0                             // 000000002260: C0021280 000000B0
	s_load_dword s68, s[0:1], 0xc0                             // 000000002268: C0021100 000000C0
	s_load_dword s69, s[0:1], 0xd0                             // 000000002270: C0021140 000000D0
	s_load_dword s77, s[0:1], 0xe0                             // 000000002278: C0021340 000000E0
	s_load_dwordx2 s[80:81], s[0:1], 0xf0                      // 000000002280: C0061400 000000F0
	v_lshrrev_b32_e32 v1, 10, v0                               // 000000002288: 2002008A
	v_lshrrev_b32_e32 v2, 10, v1                               // 00000000228C: 2004028A
	v_and_b32_e32 v2, 0x3ff, v2                                // 000000002290: 260404FF 000003FF
	v_and_b32_e32 v1, 0x3ff, v1                                // 000000002298: 260202FF 000003FF
	v_and_b32_e32 v0, 0x3ff, v0                                // 0000000022A0: 260000FF 000003FF
	v_lshrrev_b32_e32 v3, 6, v0                                // 0000000022A8: 20060086
	v_and_b32_e32 v0, 63, v0                                   // 0000000022AC: 260000BF
	s_mov_b32 s2, s2                                           // 0000000022B0: BE820002
	s_mov_b32 s3, s3                                           // 0000000022B4: BE830003
	s_mov_b32 s4, s4                                           // 0000000022B8: BE840004
	v_readfirstlane_b32 s7, v3                                 // 0000000022BC: 7E0E0503
	s_waitcnt lgkmcnt(0)                                       // 0000000022C0: BF8CC07F
	s_mul_i32 s67, 0x100, s77                                  // 0000000022C4: 92434DFF 00000100
	s_mul_i32 s76, 0x100, s77                                  // 0000000022CC: 924C4DFF 00000100
	s_mul_i32 s75, s66, s76                                    // 0000000022D4: 924B4C42
	s_mul_i32 s60, s3, 4                                       // 0000000022D8: 923C8403
	s_and_b32 s29, s29, 0xffff                                 // 0000000022DC: 861DFF1D 0000FFFF
	s_add_u32 s28, s60, s28                                    // 0000000022E4: 801C1C3C
	s_addc_u32 s29, 0, s29                                     // 0000000022E8: 821D1D80
	s_load_dword s72, s[28:29], 0x0                            // 0000000022EC: C002120E 00000000
	s_mul_i32 s60, s3, 4                                       // 0000000022F4: 923C8403
	s_and_b32 s81, s81, 0xffff                                 // 0000000022F8: 8651FF51 0000FFFF
	s_add_u32 s80, s60, s80                                    // 000000002300: 8050503C
	s_addc_u32 s81, 0, s81                                     // 000000002304: 82515180
	s_load_dword s84, s[80:81], 0x0                            // 000000002308: C0021528 00000000
	s_load_dword s85, s[80:81], 0x4                            // 000000002310: C0021568 00000004
	s_mov_b32 s10, s76                                         // 000000002318: BE8A004C
	s_mov_b32 s14, s67                                         // 00000000231C: BE8E0043
	s_mul_i32 s60, 4, s65                                      // 000000002320: 923C4184
	s_mov_b32 s26, s60                                         // 000000002324: BE9A003C
	s_mov_b32 s34, 0x80000000                                  // 000000002328: BEA200FF 80000000
	s_mov_b32 s38, 0x80000000                                  // 000000002330: BEA600FF 80000000
	s_mov_b32 s18, 0x80000000                                  // 000000002338: BE9200FF 80000000
	s_mov_b32 s22, 0x80000000                                  // 000000002340: BE9600FF 80000000
	s_mov_b32 s11, 0x20000                                     // 000000002348: BE8B00FF 00020000
	s_mov_b32 s15, 0x20000                                     // 000000002350: BE8F00FF 00020000
	s_mov_b32 s19, 0x20000                                     // 000000002358: BE9300FF 00020000
	s_mov_b32 s23, 0x20000                                     // 000000002360: BE9700FF 00020000
	s_mov_b32 s27, 0x20000                                     // 000000002368: BE9B00FF 00020000
	s_mov_b32 s35, 0x20000                                     // 000000002370: BEA300FF 00020000
	s_mov_b32 s39, 0x20000                                     // 000000002378: BEA700FF 00020000
	s_and_b32 s9, s9, 0xffff                                   // 000000002380: 8609FF09 0000FFFF
	s_and_b32 s13, s13, 0xffff                                 // 000000002388: 860DFF0D 0000FFFF
	s_and_b32 s17, s17, 0xffff                                 // 000000002390: 8611FF11 0000FFFF
	s_and_b32 s21, s21, 0xffff                                 // 000000002398: 8615FF15 0000FFFF
	s_and_b32 s25, s25, 0xffff                                 // 0000000023A0: 8619FF19 0000FFFF
	s_and_b32 s33, s33, 0xffff                                 // 0000000023A8: 8621FF21 0000FFFF
	s_and_b32 s37, s37, 0xffff                                 // 0000000023B0: 8625FF25 0000FFFF
	s_or_b32 s9, s9, 0x40000                                   // 0000000023B8: 8709FF09 00040000
	s_or_b32 s13, s13, 0x40000                                 // 0000000023C0: 870DFF0D 00040000
	s_or_b32 s17, s17, 0x40000                                 // 0000000023C8: 8711FF11 00040000
	s_or_b32 s21, s21, 0x40000                                 // 0000000023D0: 8715FF15 00040000
	s_or_b32 s25, s25, 0x40000                                 // 0000000023D8: 8719FF19 00040000
	s_or_b32 s33, s33, 0x40000                                 // 0000000023E0: 8721FF21 00040000
	s_or_b32 s37, s37, 0x40000                                 // 0000000023E8: 8725FF25 00040000
	v_accvgpr_write_b32 a127, 0                                // 0000000023F0: D3D9407F 18000080
	v_mov_b32_e32 v255, 0                                      // 0000000023F8: 7FFE0280
	s_waitcnt lgkmcnt(0)                                       // 0000000023FC: BF8CC07F
	s_sub_u32 s86, s85, s84                                    // 000000002400: 80D65455
	s_mov_b32 s60, 2                                           // 000000002404: BEBC0082
	s_cmp_eq_i32 s60, s86                                      // 000000002408: BF00563C
	s_cbranch_scc1 label_14D1                                  // 00000000240C: BF85144D
	s_mov_b32 s60, 3                                           // 000000002410: BEBC0083
	s_cmp_eq_i32 s60, s86                                      // 000000002414: BF00563C
	s_cbranch_scc1 label_3ABB                                  // 000000002418: BF853A34
	s_mov_b32 s60, 4                                           // 00000000241C: BEBC0084
	s_cmp_eq_i32 s60, s86                                      // 000000002420: BF00563C
	s_cbranch_scc1 label_7271                                  // 000000002424: BF8571E7
	s_mul_i32 s60, s3, s65                                     // 000000002428: 923C4103
	s_mul_i32 s60, s60, 4                                      // 00000000242C: 923C843C
	s_add_u32 s24, s60, s24                                    // 000000002430: 8018183C
	s_addc_u32 s25, 0, s25                                     // 000000002434: 82191980
	s_mov_b32 s56, 64                                          // 000000002438: BEB800C0
	s_add_u32 s73, s72, 15                                     // 00000000243C: 80498F48
	s_lshr_b32 s73, s73, 4                                     // 000000002440: 8F498449
	s_mul_i32 s60, s73, 4                                      // 000000002444: 923C8449
	s_mov_b32 s26, s60                                         // 000000002448: BE9A003C
	v_and_b32_e32 v65, 3, v0                                   // 00000000244C: 26820083
	v_cmp_eq_u32_e64 s[60:61], 0, v65                          // 000000002450: D0CA003C 00028280
	v_and_b32_e32 v64, 12, v0                                  // 000000002458: 2680008C
	v_add_u32_e32 v1, s7, v64                                  // 00000000245C: 68028007
	v_cndmask_b32_e64 v1, 0, v1, s[60:61]                      // 000000002460: D1000001 00F20280
	v_and_b32_e32 v65, 3, v0                                   // 000000002468: 26820083
	v_cmp_eq_u32_e64 s[60:61], 1, v65                          // 00000000246C: D0CA003C 00028281
	v_lshrrev_b32_e32 v64, 4, v0                               // 000000002474: 20800084
	v_and_b32_e32 v65, 12, v0                                  // 000000002478: 2682008C
	v_add_u32_e32 v64, v65, v64                                // 00000000247C: 68808141
	v_cndmask_b32_e64 v64, 0, v64, s[60:61]                    // 000000002480: D1000040 00F28080
	v_add_u32_e32 v1, v1, v64                                  // 000000002488: 68028101
	v_lshlrev_b32_e32 v1, 2, v1                                // 00000000248C: 24020282
	buffer_load_dword v16, v1, s[24:27], 0 offen               // 000000002490: E0501000 80061001
	v_add_u32_e32 v1, s56, v1                                  // 000000002498: 68020238
	buffer_load_dword v17, v1, s[24:27], 0 offen               // 00000000249C: E0501000 80061101
	s_cmp_le_u32 s73, 32                                       // 0000000024A4: BF0BA049
	s_cselect_b32 s56, 0, s56                                  // 0000000024A8: 85383880
	s_mul_i32 s60, s2, s67                                     // 0000000024AC: 923C4302
	s_mul_i32 s61, s84, s74                                    // 0000000024B0: 923D4A54
	s_add_u32 s60, s60, s61                                    // 0000000024B4: 803C3D3C
	s_add_u32 s12, s60, s12                                    // 0000000024B8: 800C0C3C
	s_addc_u32 s13, 0, s13                                     // 0000000024BC: 820D0D80
	s_mul_i32 s60, s7, 0x108                                   // 0000000024C0: 923CFF07 00000108
	s_add_u32 m0, 0, s60                                       // 0000000024C8: 807C3C80
	s_mul_i32 s60, s7, 0x100                                   // 0000000024CC: 923CFF07 00000100
	v_lshlrev_b32_e32 v64, 2, v0                               // 0000000024D4: 24800082
	v_add_u32_e64 v64, v64, s60                                // 0000000024D8: D1340040 00007940
	buffer_load_dword v64, s[12:15], 0 offen lds               // 0000000024E0: E0511000 80030040
	s_mul_i32 s60, 4, 0x108                                    // 0000000024E8: 923CFF84 00000108
	s_add_u32 m0, m0, s60                                      // 0000000024F0: 807C3C7C
	v_add_u32_e32 v64, 0x400, v64                              // 0000000024F4: 688080FF 00000400
	buffer_load_dword v64, s[12:15], 0 offen lds               // 0000000024FC: E0511000 80030040
	s_mul_i32 s60, 4, 0x108                                    // 000000002504: 923CFF84 00000108
	s_add_u32 m0, m0, s60                                      // 00000000250C: 807C3C7C
	v_add_u32_e32 v64, 0x400, v64                              // 000000002510: 688080FF 00000400
	buffer_load_dword v64, s[12:15], 0 offen lds               // 000000002518: E0511000 80030040
	s_mul_i32 s60, 4, 0x108                                    // 000000002520: 923CFF84 00000108
	s_add_u32 m0, m0, s60                                      // 000000002528: 807C3C7C
	v_add_u32_e32 v64, 0x400, v64                              // 00000000252C: 688080FF 00000400
	buffer_load_dword v64, s[12:15], 0 offen lds               // 000000002534: E0511000 80030040
	s_mul_i32 s60, 4, 0x108                                    // 00000000253C: 923CFF84 00000108
	s_add_u32 m0, m0, s60                                      // 000000002544: 807C3C7C
	v_add_u32_e32 v64, 0x400, v64                              // 000000002548: 688080FF 00000400
	v_lshrrev_b32_e32 v64, 4, v0                               // 000000002550: 20800084
	v_lshlrev_b32_e32 v64, 2, v64                              // 000000002554: 24808082
	v_and_b32_e32 v65, 3, v0                                   // 000000002558: 26820083
	v_add_u32_e32 v64, v65, v64                                // 00000000255C: 68808141
	v_lshlrev_b32_e32 v59, 2, v64                              // 000000002560: 24768082
	v_mov_b32_e32 v60, v59                                     // 000000002564: 7E78033B
	s_mul_i32 s60, s2, 64                                      // 000000002568: 923CC002
	s_add_u32 s32, s60, s32                                    // 00000000256C: 8020203C
	s_addc_u32 s33, 0, s33                                     // 000000002570: 82212180
	s_add_u32 s36, s60, s36                                    // 000000002574: 8024243C
	s_addc_u32 s37, 0, s37                                     // 000000002578: 82252580
	s_mul_i32 s60, s2, s76                                     // 00000000257C: 923C4C02
	s_mul_i32 s61, s84, s75                                    // 000000002580: 923D4B54
	s_add_u32 s60, s60, s61                                    // 000000002584: 803C3D3C
	s_add_u32 s8, s60, s8                                      // 000000002588: 8008083C
	s_addc_u32 s9, 0, s9                                       // 00000000258C: 82090980
	s_mov_b32 s70, 0                                           // 000000002590: BEC60080
	s_and_b32 s71, s72, 0xffffff00                             // 000000002594: 8647FF48 FFFFFF00
	s_mov_b32 s42, 0xff00ff00                                  // 00000000259C: BEAA00FF FF00FF00
	s_mov_b32 s43, 0xff00ff00                                  // 0000000025A4: BEAB00FF FF00FF00
	s_mov_b32 s44, 0xf0f0f0f0                                  // 0000000025AC: BEAC00FF F0F0F0F0
	s_mov_b32 s45, 0xf0f0f0f0                                  // 0000000025B4: BEAD00FF F0F0F0F0
	s_mov_b32 s78, 0xff00ff                                    // 0000000025BC: BECE00FF 00FF00FF
	s_mov_b32 s79, 0xff00ff                                    // 0000000025C4: BECF00FF 00FF00FF
	v_mul_i32_i24_e64 v63, 64, s66                             // 0000000025CC: D106003F 000084C0
	v_mov_b32_e32 v54, s68                                     // 0000000025D4: 7E6C0244
	s_mov_b32 s52, 0x7060302                                   // 0000000025D8: BEB400FF 07060302
	s_mov_b32 s53, 0x400                                       // 0000000025E0: BEB500FF 00000400
	s_mov_b32 s54, 0x40100                                     // 0000000025E8: BEB600FF 00040100
	s_mov_b32 s55, 0x4020100                                   // 0000000025F0: BEB700FF 04020100
	s_mov_b32 s6, 0x3fb8aa3b                                   // 0000000025F8: BE8600FF 3FB8AA3B
	v_mov_b32_e32 v11, 0xff800000                              // 000000002600: 7E1602FF FF800000
	v_mov_b32_e32 v49, 0                                       // 000000002608: 7E620280
	v_mov_b32_e32 v38, 0                                       // 00000000260C: 7E4C0280
	v_mov_b32_e32 v44, 0                                       // 000000002610: 7E580280
	v_add_u32_e32 v1, s56, v1                                  // 000000002614: 68020238
	v_and_b32_e32 v7, 15, v0                                   // 000000002618: 260E008F
	v_lshlrev_b32_e32 v7, 2, v7                                // 00000000261C: 240E0E82
	v_lshlrev_b32_e32 v8, 2, v0                                // 000000002620: 24100082
	s_mul_i32 s60, 0x100, s7                                   // 000000002624: 923C07FF 00000100
	v_add_u32_e32 v8, s60, v8                                  // 00000000262C: 6810103C
	v_lshrrev_b32_e32 v64, 4, v0                               // 000000002630: 20800084
	v_lshlrev_b32_e32 v65, 6, v64                              // 000000002634: 24828086
	v_and_b32_e32 v64, 15, v0                                  // 000000002638: 2680008F
	v_lshlrev_b32_e32 v64, 1, v64                              // 00000000263C: 24808081
	v_add_u32_e32 v65, v64, v65                                // 000000002640: 68828340
	v_lshlrev_b32_e32 v9, 2, v65                               // 000000002644: 24128282
	v_lshrrev_b32_e32 v64, 5, v0                               // 000000002648: 20800085
	v_lshlrev_b32_e32 v65, 5, v64                              // 00000000264C: 24828085
	v_and_b32_e32 v64, 31, v0                                  // 000000002650: 2680009F
	v_lshrrev_b32_e32 v66, 4, v64                              // 000000002654: 20848084
	v_add_u32_e32 v65, v66, v65                                // 000000002658: 68828342
	v_and_b32_e32 v64, 15, v0                                  // 00000000265C: 2680008F
	v_lshlrev_b32_e32 v64, 1, v64                              // 000000002660: 24808081
	v_add_u32_e32 v65, v64, v65                                // 000000002664: 68828340
	v_lshlrev_b32_e32 v64, 2, v65                              // 000000002668: 24808282
	s_mul_i32 s60, 0x100, s7                                   // 00000000266C: 923C07FF 00000100
	v_add_u32_e64 v10, v64, s60                                // 000000002674: D134000A 00007940
	v_lshlrev_b32_e32 v5, 4, v0                                // 00000000267C: 240A0084
	s_mul_i32 s60, s2, s69                                     // 000000002680: 923C4502
	s_add_u32 s16, s60, s16                                    // 000000002684: 8010103C
	s_addc_u32 s17, 0, s17                                     // 000000002688: 82111180
	v_and_b32_e32 v64, 15, v0                                  // 00000000268C: 2680008F
	v_lshlrev_b32_e32 v6, 4, v64                               // 000000002690: 240C8084
	s_mul_i32 s61, s2, s69                                     // 000000002694: 923D4502
	s_mul_i32 s60, s7, 0x100                                   // 000000002698: 923CFF07 00000100
	s_add_u32 s60, s60, s61                                    // 0000000026A0: 803C3D3C
	s_add_u32 s20, s60, s20                                    // 0000000026A4: 8014143C
	s_addc_u32 s21, 0, s21                                     // 0000000026A8: 82151580
	s_waitcnt vmcnt(4)                                         // 0000000026AC: BF8C0F74
	v_mul_u32_u24_dpp v64, v16, v54 row_newbcast:0 row_mask:0xf bank_mask:0xf// 0000000026B0: 10806CFA FF015010
	v_mul_u32_u24_dpp v65, v16, v54 row_newbcast:4 row_mask:0xf bank_mask:0xf// 0000000026B8: 10826CFA FF015410
	v_mul_u32_u24_dpp v66, v16, v54 row_newbcast:8 row_mask:0xf bank_mask:0xf// 0000000026C0: 10846CFA FF015810
	v_mul_u32_u24_dpp v67, v16, v54 row_newbcast:12 row_mask:0xf bank_mask:0xf// 0000000026C8: 10866CFA FF015C10
	v_add_u32_e32 v22, v64, v5                                 // 0000000026D0: 682C0B40
	v_add_u32_e32 v23, v65, v5                                 // 0000000026D4: 682E0B41
	v_add_u32_e32 v24, v66, v5                                 // 0000000026D8: 68300B42
	v_add_u32_e32 v25, v67, v5                                 // 0000000026DC: 68320B43
	v_mul_u32_u24_dpp v64, v16, v54 row_newbcast:1 row_mask:0xf bank_mask:0xf// 0000000026E0: 10806CFA FF015110
	v_mul_u32_u24_dpp v65, v16, v54 row_newbcast:5 row_mask:0xf bank_mask:0xf// 0000000026E8: 10826CFA FF015510
	v_mul_u32_u24_dpp v66, v16, v54 row_newbcast:9 row_mask:0xf bank_mask:0xf// 0000000026F0: 10846CFA FF015910
	v_mul_u32_u24_dpp v67, v16, v54 row_newbcast:13 row_mask:0xf bank_mask:0xf// 0000000026F8: 10866CFA FF015D10
	v_add_u32_e32 v30, v64, v6                                 // 000000002700: 683C0D40
	v_add_u32_e32 v31, v65, v6                                 // 000000002704: 683E0D41
	v_add_u32_e32 v32, v66, v6                                 // 000000002708: 68400D42
	v_add_u32_e32 v33, v67, v6                                 // 00000000270C: 68420D43
	v_mul_u32_u24_dpp v64, v16, v63 quad_perm:[0,0,0,0] row_mask:0xf bank_mask:0xf// 000000002710: 10807EFA FF000010
	v_add_u32_e32 v2, v64, v59                                 // 000000002718: 68047740
	v_mul_u32_u24_dpp v64, v16, v63 quad_perm:[0,0,0,0] row_mask:0xf bank_mask:0xf// 00000000271C: 10807EFA FF000010
	v_add_u32_e32 v55, v64, v60                                // 000000002724: 686E7940
	buffer_load_dword v42, v2, s[32:35], 0 offen               // 000000002728: E0501000 80082A02
	buffer_load_dwordx4 a[0:3], v22, s[16:19], 0 offen         // 000000002730: E05C1000 80840016
	buffer_load_dwordx4 a[4:7], v22, s[16:19], 0 offen offset:1024// 000000002738: E05C1400 80840416
	buffer_load_dwordx4 a[8:11], v23, s[16:19], 0 offen        // 000000002740: E05C1000 80840817
	buffer_load_dwordx4 a[12:15], v23, s[16:19], 0 offen offset:1024// 000000002748: E05C1400 80840C17
	buffer_load_dwordx4 a[16:19], v24, s[16:19], 0 offen       // 000000002750: E05C1000 80841018
	buffer_load_dwordx4 a[20:23], v24, s[16:19], 0 offen offset:1024// 000000002758: E05C1400 80841418
	buffer_load_dwordx4 a[24:27], v25, s[16:19], 0 offen       // 000000002760: E05C1000 80841819
	buffer_load_dwordx4 a[28:31], v25, s[16:19], 0 offen offset:1024// 000000002768: E05C1400 80841C19
	buffer_load_dword v57, v55, s[36:39], 0 offen              // 000000002770: E0501000 80093937
	buffer_load_dwordx4 a[64:67], v30, s[20:23], 0 offen       // 000000002778: E05C1000 8085401E
	buffer_load_dwordx4 a[68:71], v31, s[20:23], 0 offen       // 000000002780: E05C1000 8085441F
	buffer_load_dwordx4 a[72:75], v32, s[20:23], 0 offen       // 000000002788: E05C1000 80854820
	buffer_load_dwordx4 a[76:79], v33, s[20:23], 0 offen       // 000000002790: E05C1000 80854C21
	buffer_load_dwordx4 a[80:83], v30, s[20:23], 0 offen offset:1024// 000000002798: E05C1400 8085501E
	buffer_load_dwordx4 a[84:87], v31, s[20:23], 0 offen offset:1024// 0000000027A0: E05C1400 8085541F
	buffer_load_dwordx4 a[88:91], v32, s[20:23], 0 offen offset:1024// 0000000027A8: E05C1400 80855820
	buffer_load_dwordx4 a[92:95], v33, s[20:23], 0 offen offset:1024// 0000000027B0: E05C1400 80855C21
	v_lshrrev_b32_e32 v64, 4, v0                               // 0000000027B8: 20800084
	v_lshlrev_b32_e32 v65, 1, v64                              // 0000000027BC: 24828081
	v_and_b32_e32 v64, 15, v0                                  // 0000000027C0: 2680008F
	v_mul_i32_i24_e32 v64, 0x42, v64                           // 0000000027C4: 0C8080FF 00000042
	v_add_u32_e32 v65, v64, v65                                // 0000000027CC: 68828340
	v_lshlrev_b32_e32 v4, 2, v65                               // 0000000027D0: 24088282
	s_mul_i32 s60, s7, 32                                      // 0000000027D4: 923CA007
	v_add_u32_e32 v4, s60, v4                                  // 0000000027D8: 6808083C
	s_waitcnt vmcnt(16) lgkmcnt(0)                             // 0000000027DC: BF8C4070
	s_barrier                                                  // 0000000027E0: BF8A0000
	ds_read_b64 v[80:81], v4                                   // 0000000027E4: D8EC0000 50000004
	ds_read_b64 v[84:85], v4 offset:128                        // 0000000027EC: D8EC0080 54000004
	s_waitcnt lgkmcnt(0)                                       // 0000000027F4: BF8CC07F
	v_and_b32_e32 v64, 0xffff, v80                             // 0000000027F8: 2680A0FF 0000FFFF
	v_lshrrev_b32_e32 v65, 16, v80                             // 000000002800: 2082A090
	v_and_b32_e32 v66, 0xffff, v81                             // 000000002804: 2684A2FF 0000FFFF
	v_lshrrev_b32_e32 v67, 16, v81                             // 00000000280C: 2086A290
	v_cvt_f32_f16_e32 v80, v64                                 // 000000002810: 7EA01740
	v_cvt_f32_f16_e32 v81, v65                                 // 000000002814: 7EA21741
	v_cvt_f32_f16_e32 v82, v66                                 // 000000002818: 7EA41742
	v_cvt_f32_f16_e32 v83, v67                                 // 00000000281C: 7EA61743
	v_and_b32_e32 v64, 0xffff, v84                             // 000000002820: 2680A8FF 0000FFFF
	v_lshrrev_b32_e32 v65, 16, v84                             // 000000002828: 2082A890
	v_and_b32_e32 v66, 0xffff, v85                             // 00000000282C: 2684AAFF 0000FFFF
	v_lshrrev_b32_e32 v67, 16, v85                             // 000000002834: 2086AA90
	v_cvt_f32_f16_e32 v84, v64                                 // 000000002838: 7EA81740
	v_cvt_f32_f16_e32 v85, v65                                 // 00000000283C: 7EAA1741
	v_cvt_f32_f16_e32 v86, v66                                 // 000000002840: 7EAC1742
	v_cvt_f32_f16_e32 v87, v67                                 // 000000002844: 7EAE1743
	v_mov_b32_e32 v48, 0x358637bd                              // 000000002848: 7E6002FF 358637BD
	v_max3_f32 v48, |v80|, |v81|, v48                          // 000000002850: D1D30330 04C2A350
	v_max3_f32 v48, |v82|, |v83|, v48                          // 000000002858: D1D30330 04C2A752
	v_max3_f32 v48, |v84|, |v85|, v48                          // 000000002860: D1D30330 04C2AB54
	v_max3_f32 v48, |v86|, |v87|, v48                          // 000000002868: D1D30330 04C2AF56
	ds_write_b32 v8, v48 offset:16896                          // 000000002870: D81A4200 00003008
	s_waitcnt lgkmcnt(0)                                       // 000000002878: BF8CC07F
	s_barrier                                                  // 00000000287C: BF8A0000
	ds_read_b32 v64, v7 offset:16896                           // 000000002880: D86C4200 40000007
	ds_read_b32 v65, v7 offset:16960                           // 000000002888: D86C4240 41000007
	ds_read_b32 v66, v7 offset:17024                           // 000000002890: D86C4280 42000007
	ds_read_b32 v67, v7 offset:17088                           // 000000002898: D86C42C0 43000007
	ds_read_b32 v68, v7 offset:17152                           // 0000000028A0: D86C4300 44000007
	ds_read_b32 v69, v7 offset:17216                           // 0000000028A8: D86C4340 45000007
	ds_read_b32 v70, v7 offset:17280                           // 0000000028B0: D86C4380 46000007
	ds_read_b32 v71, v7 offset:17344                           // 0000000028B8: D86C43C0 47000007
	ds_read_b32 v72, v7 offset:17408                           // 0000000028C0: D86C4400 48000007
	ds_read_b32 v73, v7 offset:17472                           // 0000000028C8: D86C4440 49000007
	ds_read_b32 v74, v7 offset:17536                           // 0000000028D0: D86C4480 4A000007
	ds_read_b32 v75, v7 offset:17600                           // 0000000028D8: D86C44C0 4B000007
	ds_read_b32 v76, v7 offset:17664                           // 0000000028E0: D86C4500 4C000007
	ds_read_b32 v77, v7 offset:17728                           // 0000000028E8: D86C4540 4D000007
	ds_read_b32 v78, v7 offset:17792                           // 0000000028F0: D86C4580 4E000007
	ds_read_b32 v79, v7 offset:17856                           // 0000000028F8: D86C45C0 4F000007
	s_waitcnt lgkmcnt(0)                                       // 000000002900: BF8CC07F
	v_max3_f32 v48, |v64|, |v65|, v48                          // 000000002904: D1D30330 04C28340
	v_max3_f32 v48, |v66|, |v67|, v48                          // 00000000290C: D1D30330 04C28742
	v_max3_f32 v48, |v68|, |v69|, v48                          // 000000002914: D1D30330 04C28B44
	v_max3_f32 v48, |v70|, |v71|, v48                          // 00000000291C: D1D30330 04C28F46
	v_max3_f32 v48, |v72|, |v73|, v48                          // 000000002924: D1D30330 04C29348
	v_max3_f32 v48, |v74|, |v75|, v48                          // 00000000292C: D1D30330 04C2974A
	v_max3_f32 v48, |v76|, |v77|, v48                          // 000000002934: D1D30330 04C29B4C
	v_max3_f32 v48, |v78|, |v79|, v48                          // 00000000293C: D1D30330 04C29F4E
	v_rcp_f32_e32 v48, v48                                     // 000000002944: 7E604530
	s_nop 1                                                    // 000000002948: BF800001
	v_mul_f32_e32 v48, 0x42fe0000, v48                         // 00000000294C: 0A6060FF 42FE0000
	v_mul_f32_e32 v80, v48, v80                                // 000000002954: 0AA0A130
	v_mul_f32_e32 v81, v48, v81                                // 000000002958: 0AA2A330
	v_mul_f32_e32 v82, v48, v82                                // 00000000295C: 0AA4A530
	v_mul_f32_e32 v83, v48, v83                                // 000000002960: 0AA6A730
	v_mul_f32_e32 v84, v48, v84                                // 000000002964: 0AA8A930
	v_mul_f32_e32 v85, v48, v85                                // 000000002968: 0AAAAB30
	v_mul_f32_e32 v86, v48, v86                                // 00000000296C: 0AACAD30
	v_mul_f32_e32 v87, v48, v87                                // 000000002970: 0AAEAF30
	v_cvt_i32_f32_e32 v80, v80                                 // 000000002974: 7EA01150
	v_cvt_i32_f32_e32 v81, v81                                 // 000000002978: 7EA21151
	v_cvt_i32_f32_e32 v82, v82                                 // 00000000297C: 7EA41152
	v_cvt_i32_f32_e32 v83, v83                                 // 000000002980: 7EA61153
	v_cvt_i32_f32_e32 v84, v84                                 // 000000002984: 7EA81154
	v_cvt_i32_f32_e32 v85, v85                                 // 000000002988: 7EAA1155
	v_cvt_i32_f32_e32 v86, v86                                 // 00000000298C: 7EAC1156
	v_cvt_i32_f32_e32 v87, v87                                 // 000000002990: 7EAE1157
	v_rcp_f32_e32 v18, v48                                     // 000000002994: 7E244530
	v_perm_b32 v80, v81, v80, s53                              // 000000002998: D1ED0050 00D6A151
	v_perm_b32 v80, v82, v80, s54                              // 0000000029A0: D1ED0050 00DAA152
	v_perm_b32 v80, v83, v80, s55                              // 0000000029A8: D1ED0050 00DEA153
	v_perm_b32 v81, v85, v84, s53                              // 0000000029B0: D1ED0051 00D6A955
	v_perm_b32 v81, v86, v81, s54                              // 0000000029B8: D1ED0051 00DAA356
	v_perm_b32 v81, v87, v81, s55                              // 0000000029C0: D1ED0051 00DEA357
	ds_write_b32 v10, v80 offset:25088                         // 0000000029C8: D81A6200 0000500A
	ds_write_b32 v10, v81 offset:26112                         // 0000000029D0: D81A6600 0000510A
	s_waitcnt lgkmcnt(0)                                       // 0000000029D8: BF8CC07F
	s_barrier                                                  // 0000000029DC: BF8A0000
	ds_read_b64 v[80:81], v9 offset:25088                      // 0000000029E0: D8EC6200 50000009
	ds_read_b64 v[82:83], v9 offset:25216                      // 0000000029E8: D8EC6280 52000009
	ds_read_b64 v[84:85], v9 offset:26112                      // 0000000029F0: D8EC6600 54000009
	ds_read_b64 v[86:87], v9 offset:26240                      // 0000000029F8: D8EC6680 56000009
	v_mov_b32_e32 v208, 0                                      // 000000002A00: 7FA00280
	v_mov_b32_e32 v209, 0                                      // 000000002A04: 7FA20280
	v_mov_b32_e32 v210, 0                                      // 000000002A08: 7FA40280
	v_mov_b32_e32 v211, 0                                      // 000000002A0C: 7FA60280
	v_mov_b32_e32 v212, 0                                      // 000000002A10: 7FA80280
	v_mov_b32_e32 v213, 0                                      // 000000002A14: 7FAA0280
	v_mov_b32_e32 v214, 0                                      // 000000002A18: 7FAC0280
	v_mov_b32_e32 v215, 0                                      // 000000002A1C: 7FAE0280
	v_mov_b32_e32 v176, 0                                      // 000000002A20: 7F600280
	v_mov_b32_e32 v177, 0                                      // 000000002A24: 7F620280
	v_mov_b32_e32 v178, 0                                      // 000000002A28: 7F640280
	v_mov_b32_e32 v179, 0                                      // 000000002A2C: 7F660280
	v_mov_b32_e32 v180, 0                                      // 000000002A30: 7F680280
	v_mov_b32_e32 v181, 0                                      // 000000002A34: 7F6A0280
	v_mov_b32_e32 v182, 0                                      // 000000002A38: 7F6C0280
	v_mov_b32_e32 v183, 0                                      // 000000002A3C: 7F6E0280
	s_waitcnt vmcnt(8) lgkmcnt(0)                              // 000000002A40: BF8C0078
	s_barrier                                                  // 000000002A44: BF8A0000
	s_cmp_lt_u32 s73, 16                                       // 000000002A48: BF0A9049
	s_cbranch_scc1 label_0DE3                                  // 000000002A4C: BF850BCF
	s_cmp_lt_i32 s7, 2                                         // 000000002A50: BF048207
	s_cbranch_scc0 label_07FE                                  // 000000002A54: BF8405E8

0000000000002a58 <label_0216>:
	s_waitcnt vmcnt(8) lgkmcnt(0)                              // 000000002A58: BF8C0078
	v_mul_u32_u24_dpp v64, v17, v54 row_newbcast:0 row_mask:0xf bank_mask:0xf// 000000002A5C: 10806CFA FF015011
	v_mul_u32_u24_dpp v65, v17, v54 row_newbcast:4 row_mask:0xf bank_mask:0xf// 000000002A64: 10826CFA FF015411
	v_mul_u32_u24_dpp v66, v17, v54 row_newbcast:8 row_mask:0xf bank_mask:0xf// 000000002A6C: 10846CFA FF015811
	v_mul_u32_u24_dpp v67, v17, v54 row_newbcast:12 row_mask:0xf bank_mask:0xf// 000000002A74: 10866CFA FF015C11
	v_add_u32_e32 v26, v64, v5                                 // 000000002A7C: 68340B40
	v_add_u32_e32 v27, v65, v5                                 // 000000002A80: 68360B41
	v_add_u32_e32 v28, v66, v5                                 // 000000002A84: 68380B42
	v_add_u32_e32 v29, v67, v5                                 // 000000002A88: 683A0B43
	v_mul_u32_u24_dpp v64, v17, v63 quad_perm:[0,0,0,0] row_mask:0xf bank_mask:0xf// 000000002A8C: 10807EFA FF000011
	v_add_u32_e32 v3, v64, v59                                 // 000000002A94: 68067740
	v_mul_u32_u24_dpp v64, v17, v63 quad_perm:[0,0,0,0] row_mask:0xf bank_mask:0xf// 000000002A98: 10807EFA FF000011
	v_add_u32_e32 v56, v64, v60                                // 000000002AA0: 68707940
	v_mfma_i32_16x16x32_i8 v[112:115], a[0:1], v[80:81], 0     // 000000002AA4: D3D70070 0A02A100
	v_mfma_i32_16x16x32_i8 v[112:115], a[2:3], v[82:83], v[112:115]// 000000002AAC: D3D70070 0DC2A502
	buffer_load_dwordx4 a[32:35], v26, s[16:19], 0 offen       // 000000002AB4: E05C1000 8084201A
	v_mfma_i32_16x16x32_i8 v[112:115], a[4:5], v[84:85], v[112:115]// 000000002ABC: D3D70070 0DC2A904
	v_mfma_i32_16x16x32_i8 v[112:115], a[6:7], v[86:87], v[112:115]// 000000002AC4: D3D70070 0DC2AD06
	buffer_load_dword v16, v1, s[24:27], 0 offen               // 000000002ACC: E0501000 80061001
	v_mfma_i32_16x16x32_i8 v[116:119], a[8:9], v[80:81], 0     // 000000002AD4: D3D70074 0A02A108
	v_mfma_i32_16x16x32_i8 v[116:119], a[10:11], v[82:83], v[116:119]// 000000002ADC: D3D70074 0DD2A50A
	buffer_load_dwordx4 a[36:39], v26, s[16:19], 0 offen offset:1024// 000000002AE4: E05C1400 8084241A
	v_mfma_i32_16x16x32_i8 v[116:119], a[12:13], v[84:85], v[116:119]// 000000002AEC: D3D70074 0DD2A90C
	v_mfma_i32_16x16x32_i8 v[116:119], a[14:15], v[86:87], v[116:119]// 000000002AF4: D3D70074 0DD2AD0E
	v_mfma_i32_16x16x32_i8 v[120:123], a[16:17], v[80:81], 0   // 000000002AFC: D3D70078 0A02A110
	v_mfma_i32_16x16x32_i8 v[120:123], a[18:19], v[82:83], v[120:123]// 000000002B04: D3D70078 0DE2A512
	buffer_load_dwordx4 a[40:43], v27, s[16:19], 0 offen       // 000000002B0C: E05C1000 8084281B
	v_mfma_i32_16x16x32_i8 v[120:123], a[20:21], v[84:85], v[120:123]// 000000002B14: D3D70078 0DE2A914
	v_mfma_i32_16x16x32_i8 v[120:123], a[22:23], v[86:87], v[120:123]// 000000002B1C: D3D70078 0DE2AD16
	v_mfma_i32_16x16x32_i8 v[124:127], a[24:25], v[80:81], 0   // 000000002B24: D3D7007C 0A02A118
	v_mfma_i32_16x16x32_i8 v[124:127], a[26:27], v[82:83], v[124:127]// 000000002B2C: D3D7007C 0DF2A51A
	buffer_load_dwordx4 a[44:47], v27, s[16:19], 0 offen offset:1024// 000000002B34: E05C1400 80842C1B
	v_mfma_i32_16x16x32_i8 v[124:127], a[28:29], v[84:85], v[124:127]// 000000002B3C: D3D7007C 0DF2A91C
	v_mfma_i32_16x16x32_i8 v[124:127], a[30:31], v[86:87], v[124:127]// 000000002B44: D3D7007C 0DF2AD1E
	buffer_load_dword v43, v3, s[32:35], 0 offen               // 000000002B4C: E0501000 80082B03
	v_mov_b32_dpp v64, v42 row_shr:4 row_mask:0xf bank_mask:0xf// 000000002B54: 7E8002FA FF01142A
	v_mov_b32_dpp v65, v42 row_shl:4 row_mask:0xf bank_mask:0xf// 000000002B5C: 7E8202FA FF01042A
	v_cndmask_b32_e64 v248, v42, v64, s[44:45]                 // 000000002B64: D10000F8 00B2812A
	v_cndmask_b32_e64 v249, v65, v42, s[44:45]                 // 000000002B6C: D10000F9 00B25541
	v_mov_b32_dpp v64, v248 row_shr:8 row_mask:0xf bank_mask:0xf// 000000002B74: 7E8002FA FF0118F8
	v_mov_b32_dpp v65, v248 row_shl:8 row_mask:0xf bank_mask:0xf// 000000002B7C: 7E8202FA FF0108F8
	v_mov_b32_dpp v66, v249 row_shr:8 row_mask:0xf bank_mask:0xf// 000000002B84: 7E8402FA FF0118F9
	v_mov_b32_dpp v67, v249 row_shl:8 row_mask:0xf bank_mask:0xf// 000000002B8C: 7E8602FA FF0108F9
	v_mov_b32_e32 v68, v248                                    // 000000002B94: 7E8803F8
	v_mov_b32_e32 v69, v249                                    // 000000002B98: 7E8A03F9
	v_cndmask_b32_e64 v248, v68, v64, s[42:43]                 // 000000002B9C: D10000F8 00AA8144
	v_cndmask_b32_e64 v250, v68, v65, s[78:79]                 // 000000002BA4: D10000FA 013A8344
	v_cndmask_b32_e64 v249, v69, v66, s[42:43]                 // 000000002BAC: D10000F9 00AA8545
	v_cndmask_b32_e64 v251, v69, v67, s[78:79]                 // 000000002BB4: D10000FB 013A8745
	v_mov_b32_dpp v64, v57 row_shr:4 row_mask:0xf bank_mask:0xf// 000000002BBC: 7E8002FA FF011439
	v_mov_b32_dpp v65, v57 row_shl:4 row_mask:0xf bank_mask:0xf// 000000002BC4: 7E8202FA FF010439
	v_cndmask_b32_e64 v252, v57, v64, s[44:45]                 // 000000002BCC: D10000FC 00B28139
	v_cndmask_b32_e64 v253, v65, v57, s[44:45]                 // 000000002BD4: D10000FD 00B27341
	v_mov_b32_dpp v64, v252 row_shr:8 row_mask:0xf bank_mask:0xf// 000000002BDC: 7E8002FA FF0118FC
	v_mov_b32_dpp v65, v252 row_shl:8 row_mask:0xf bank_mask:0xf// 000000002BE4: 7E8202FA FF0108FC
	v_mov_b32_dpp v66, v253 row_shr:8 row_mask:0xf bank_mask:0xf// 000000002BEC: 7E8402FA FF0118FD
	v_mov_b32_dpp v67, v253 row_shl:8 row_mask:0xf bank_mask:0xf// 000000002BF4: 7E8602FA FF0108FD
	v_mov_b32_e32 v68, v252                                    // 000000002BFC: 7E8803FC
	v_mov_b32_e32 v69, v253                                    // 000000002C00: 7E8A03FD
	v_cndmask_b32_e64 v252, v68, v64, s[42:43]                 // 000000002C04: D10000FC 00AA8144
	v_cndmask_b32_e64 v254, v68, v65, s[78:79]                 // 000000002C0C: D10000FE 013A8344
	v_cndmask_b32_e64 v253, v69, v66, s[42:43]                 // 000000002C14: D10000FD 00AA8545
	v_cndmask_b32_e64 v255, v69, v67, s[78:79]                 // 000000002C1C: D10000FF 013A8745
	buffer_load_dword v58, v56, s[36:39], 0 offen              // 000000002C24: E0501000 80093A38
	v_cvt_f32_i32_e32 v112, v112                               // 000000002C2C: 7EE00B70
	v_cvt_f32_i32_e32 v113, v113                               // 000000002C30: 7EE20B71
	v_cvt_f32_i32_e32 v114, v114                               // 000000002C34: 7EE40B72
	v_cvt_f32_i32_e32 v115, v115                               // 000000002C38: 7EE60B73
	v_cvt_f32_i32_e32 v116, v116                               // 000000002C3C: 7EE80B74
	v_cvt_f32_i32_e32 v117, v117                               // 000000002C40: 7EEA0B75
	v_cvt_f32_i32_e32 v118, v118                               // 000000002C44: 7EEC0B76
	v_cvt_f32_i32_e32 v119, v119                               // 000000002C48: 7EEE0B77
	v_cvt_f32_i32_e32 v120, v120                               // 000000002C4C: 7EF00B78
	v_cvt_f32_i32_e32 v121, v121                               // 000000002C50: 7EF20B79
	v_cvt_f32_i32_e32 v122, v122                               // 000000002C54: 7EF40B7A
	v_cvt_f32_i32_e32 v123, v123                               // 000000002C58: 7EF60B7B
	v_cvt_f32_i32_e32 v124, v124                               // 000000002C5C: 7EF80B7C
	v_cvt_f32_i32_e32 v125, v125                               // 000000002C60: 7EFA0B7D
	v_cvt_f32_i32_e32 v126, v126                               // 000000002C64: 7EFC0B7E
	v_cvt_f32_i32_e32 v127, v127                               // 000000002C68: 7EFE0B7F
	v_mul_f32_e32 v112, v18, v112                              // 000000002C6C: 0AE0E112
	v_mul_f32_e32 v113, v18, v113                              // 000000002C70: 0AE2E312
	v_mul_f32_e32 v114, v18, v114                              // 000000002C74: 0AE4E512
	v_mul_f32_e32 v115, v18, v115                              // 000000002C78: 0AE6E712
	v_mul_f32_e32 v116, v18, v116                              // 000000002C7C: 0AE8E912
	v_mul_f32_e32 v117, v18, v117                              // 000000002C80: 0AEAEB12
	v_mul_f32_e32 v118, v18, v118                              // 000000002C84: 0AECED12
	v_mul_f32_e32 v119, v18, v119                              // 000000002C88: 0AEEEF12
	v_mul_f32_e32 v120, v18, v120                              // 000000002C8C: 0AF0F112
	v_mul_f32_e32 v121, v18, v121                              // 000000002C90: 0AF2F312
	v_mul_f32_e32 v122, v18, v122                              // 000000002C94: 0AF4F512
	v_mul_f32_e32 v123, v18, v123                              // 000000002C98: 0AF6F712
	v_mul_f32_e32 v124, v18, v124                              // 000000002C9C: 0AF8F912
	v_mul_f32_e32 v125, v18, v125                              // 000000002CA0: 0AFAFB12
	v_mul_f32_e32 v126, v18, v126                              // 000000002CA4: 0AFCFD12
	v_mul_f32_e32 v127, v18, v127                              // 000000002CA8: 0AFEFF12
	buffer_load_dwordx4 a[48:51], v28, s[16:19], 0 offen       // 000000002CAC: E05C1000 8084301C
	v_mul_f32_dpp v112, v248, v112 quad_perm:[0,0,0,0] row_mask:0xf bank_mask:0xf// 000000002CB4: 0AE0E0FA FF0000F8
	v_mul_f32_dpp v113, v248, v113 quad_perm:[1,1,1,1] row_mask:0xf bank_mask:0xf// 000000002CBC: 0AE2E2FA FF0055F8
	v_mul_f32_dpp v114, v248, v114 quad_perm:[2,2,2,2] row_mask:0xf bank_mask:0xf// 000000002CC4: 0AE4E4FA FF00AAF8
	v_mul_f32_dpp v115, v248, v115 quad_perm:[3,3,3,3] row_mask:0xf bank_mask:0xf// 000000002CCC: 0AE6E6FA FF00FFF8
	v_mul_f32_dpp v116, v249, v116 quad_perm:[0,0,0,0] row_mask:0xf bank_mask:0xf// 000000002CD4: 0AE8E8FA FF0000F9
	v_mul_f32_dpp v117, v249, v117 quad_perm:[1,1,1,1] row_mask:0xf bank_mask:0xf// 000000002CDC: 0AEAEAFA FF0055F9
	v_mul_f32_dpp v118, v249, v118 quad_perm:[2,2,2,2] row_mask:0xf bank_mask:0xf// 000000002CE4: 0AECECFA FF00AAF9
	v_mul_f32_dpp v119, v249, v119 quad_perm:[3,3,3,3] row_mask:0xf bank_mask:0xf// 000000002CEC: 0AEEEEFA FF00FFF9
	v_mul_f32_dpp v120, v250, v120 quad_perm:[0,0,0,0] row_mask:0xf bank_mask:0xf// 000000002CF4: 0AF0F0FA FF0000FA
	v_mul_f32_dpp v121, v250, v121 quad_perm:[1,1,1,1] row_mask:0xf bank_mask:0xf// 000000002CFC: 0AF2F2FA FF0055FA
	v_mul_f32_dpp v122, v250, v122 quad_perm:[2,2,2,2] row_mask:0xf bank_mask:0xf// 000000002D04: 0AF4F4FA FF00AAFA
	v_mul_f32_dpp v123, v250, v123 quad_perm:[3,3,3,3] row_mask:0xf bank_mask:0xf// 000000002D0C: 0AF6F6FA FF00FFFA
	v_mul_f32_dpp v124, v251, v124 quad_perm:[0,0,0,0] row_mask:0xf bank_mask:0xf// 000000002D14: 0AF8F8FA FF0000FB
	v_mul_f32_dpp v125, v251, v125 quad_perm:[1,1,1,1] row_mask:0xf bank_mask:0xf// 000000002D1C: 0AFAFAFA FF0055FB
	v_mul_f32_dpp v126, v251, v126 quad_perm:[2,2,2,2] row_mask:0xf bank_mask:0xf// 000000002D24: 0AFCFCFA FF00AAFB
	v_mul_f32_dpp v127, v251, v127 quad_perm:[3,3,3,3] row_mask:0xf bank_mask:0xf// 000000002D2C: 0AFEFEFA FF00FFFB
	buffer_load_dwordx4 a[52:55], v28, s[16:19], 0 offen offset:1024// 000000002D34: E05C1400 8084341C
	s_cmp_le_i32 s90, s89                                      // 000000002D3C: BF05595A
	s_cbranch_scc1 label_0342                                  // 000000002D40: BF850071
	v_mov_b32_e32 v66, 0xff800000                              // 000000002D44: 7E8402FF FF800000
	s_mov_b32 s60, s90                                         // 000000002D4C: BEBC005A
	s_add_u32 s61, s89, 0xff                                   // 000000002D50: 803DFF59 000000FF
	v_mov_b32_e32 v64, s61                                     // 000000002D58: 7E80023D
	v_lshrrev_b32_e32 v240, 4, v0                              // 000000002D5C: 21E00084
	v_mul_i32_i24_e32 v240, 4, v240                            // 000000002D60: 0DE1E084
	v_add_u32_e32 v240, s60, v240                              // 000000002D64: 69E1E03C
	s_mov_b32 s61, 0                                           // 000000002D68: BEBD0080
	s_mul_i32 s60, 16, s7                                      // 000000002D6C: 923C0790
	v_sub_u32_e64 v240, v240, s61                              // 000000002D70: D13500F0 00007BF0
	v_add_u32_e32 v240, s60, v240                              // 000000002D78: 69E1E03C
	v_add_u32_e32 v241, 1, v240                                // 000000002D7C: 69E3E081
	v_add_u32_e32 v242, 2, v240                                // 000000002D80: 69E5E082
	v_add_u32_e32 v243, 3, v240                                // 000000002D84: 69E7E083
	v_cmp_le_u32_e64 s[40:41], v240, v64                       // 000000002D88: D0CB0028 000281F0
	v_add_u32_e32 v240, 64, v240                               // 000000002D90: 69E1E0C0
	s_nop 0                                                    // 000000002D94: BF800000
	v_cndmask_b32_e64 v112, v66, v112, s[40:41]                // 000000002D98: D1000070 00A2E142
	v_cmp_le_u32_e64 s[40:41], v241, v64                       // 000000002DA0: D0CB0028 000281F1
	v_add_u32_e32 v241, 64, v241                               // 000000002DA8: 69E3E2C0
	s_nop 0                                                    // 000000002DAC: BF800000
	v_cndmask_b32_e64 v113, v66, v113, s[40:41]                // 000000002DB0: D1000071 00A2E342
	v_cmp_le_u32_e64 s[40:41], v242, v64                       // 000000002DB8: D0CB0028 000281F2
	v_add_u32_e32 v242, 64, v242                               // 000000002DC0: 69E5E4C0
	s_nop 0                                                    // 000000002DC4: BF800000
	v_cndmask_b32_e64 v114, v66, v114, s[40:41]                // 000000002DC8: D1000072 00A2E542
	v_cmp_le_u32_e64 s[40:41], v243, v64                       // 000000002DD0: D0CB0028 000281F3
	v_add_u32_e32 v243, 64, v243                               // 000000002DD8: 69E7E6C0
	s_nop 0                                                    // 000000002DDC: BF800000
	v_cndmask_b32_e64 v115, v66, v115, s[40:41]                // 000000002DE0: D1000073 00A2E742
	v_cmp_le_u32_e64 s[40:41], v240, v64                       // 000000002DE8: D0CB0028 000281F0
	v_add_u32_e32 v240, 64, v240                               // 000000002DF0: 69E1E0C0
	s_nop 0                                                    // 000000002DF4: BF800000
	v_cndmask_b32_e64 v116, v66, v116, s[40:41]                // 000000002DF8: D1000074 00A2E942
	v_cmp_le_u32_e64 s[40:41], v241, v64                       // 000000002E00: D0CB0028 000281F1
	v_add_u32_e32 v241, 64, v241                               // 000000002E08: 69E3E2C0
	s_nop 0                                                    // 000000002E0C: BF800000
	v_cndmask_b32_e64 v117, v66, v117, s[40:41]                // 000000002E10: D1000075 00A2EB42
	v_cmp_le_u32_e64 s[40:41], v242, v64                       // 000000002E18: D0CB0028 000281F2
	v_add_u32_e32 v242, 64, v242                               // 000000002E20: 69E5E4C0
	s_nop 0                                                    // 000000002E24: BF800000
	v_cndmask_b32_e64 v118, v66, v118, s[40:41]                // 000000002E28: D1000076 00A2ED42
	v_cmp_le_u32_e64 s[40:41], v243, v64                       // 000000002E30: D0CB0028 000281F3
	v_add_u32_e32 v243, 64, v243                               // 000000002E38: 69E7E6C0
	s_nop 0                                                    // 000000002E3C: BF800000
	v_cndmask_b32_e64 v119, v66, v119, s[40:41]                // 000000002E40: D1000077 00A2EF42
	v_cmp_le_u32_e64 s[40:41], v240, v64                       // 000000002E48: D0CB0028 000281F0
	v_add_u32_e32 v240, 64, v240                               // 000000002E50: 69E1E0C0
	s_nop 0                                                    // 000000002E54: BF800000
	v_cndmask_b32_e64 v120, v66, v120, s[40:41]                // 000000002E58: D1000078 00A2F142
	v_cmp_le_u32_e64 s[40:41], v241, v64                       // 000000002E60: D0CB0028 000281F1
	v_add_u32_e32 v241, 64, v241                               // 000000002E68: 69E3E2C0
	s_nop 0                                                    // 000000002E6C: BF800000
	v_cndmask_b32_e64 v121, v66, v121, s[40:41]                // 000000002E70: D1000079 00A2F342
	v_cmp_le_u32_e64 s[40:41], v242, v64                       // 000000002E78: D0CB0028 000281F2
	v_add_u32_e32 v242, 64, v242                               // 000000002E80: 69E5E4C0
	s_nop 0                                                    // 000000002E84: BF800000
	v_cndmask_b32_e64 v122, v66, v122, s[40:41]                // 000000002E88: D100007A 00A2F542
	v_cmp_le_u32_e64 s[40:41], v243, v64                       // 000000002E90: D0CB0028 000281F3
	v_add_u32_e32 v243, 64, v243                               // 000000002E98: 69E7E6C0
	s_nop 0                                                    // 000000002E9C: BF800000
	v_cndmask_b32_e64 v123, v66, v123, s[40:41]                // 000000002EA0: D100007B 00A2F742
	v_cmp_le_u32_e64 s[40:41], v240, v64                       // 000000002EA8: D0CB0028 000281F0
	v_add_u32_e32 v240, 64, v240                               // 000000002EB0: 69E1E0C0
	s_nop 0                                                    // 000000002EB4: BF800000
	v_cndmask_b32_e64 v124, v66, v124, s[40:41]                // 000000002EB8: D100007C 00A2F942
	v_cmp_le_u32_e64 s[40:41], v241, v64                       // 000000002EC0: D0CB0028 000281F1
	v_add_u32_e32 v241, 64, v241                               // 000000002EC8: 69E3E2C0
	s_nop 0                                                    // 000000002ECC: BF800000
	v_cndmask_b32_e64 v125, v66, v125, s[40:41]                // 000000002ED0: D100007D 00A2FB42
	v_cmp_le_u32_e64 s[40:41], v242, v64                       // 000000002ED8: D0CB0028 000281F2
	v_add_u32_e32 v242, 64, v242                               // 000000002EE0: 69E5E4C0
	s_nop 0                                                    // 000000002EE4: BF800000
	v_cndmask_b32_e64 v126, v66, v126, s[40:41]                // 000000002EE8: D100007E 00A2FD42
	v_cmp_le_u32_e64 s[40:41], v243, v64                       // 000000002EF0: D0CB0028 000281F3
	v_add_u32_e32 v243, 64, v243                               // 000000002EF8: 69E7E6C0
	s_nop 0                                                    // 000000002EFC: BF800000
	v_cndmask_b32_e64 v127, v66, v127, s[40:41]                // 000000002F00: D100007F 00A2FF42

0000000000002f08 <label_0342>:
	s_add_u32 s90, s91, s90                                    // 000000002F08: 805A5A5B
	v_mov_b32_e32 v48, v112                                    // 000000002F0C: 7E600370
	v_max3_f32 v48, v112, v113, v48                            // 000000002F10: D1D30030 04C2E370
	v_max3_f32 v48, v114, v115, v48                            // 000000002F18: D1D30030 04C2E772
	v_max3_f32 v48, v116, v117, v48                            // 000000002F20: D1D30030 04C2EB74
	v_max3_f32 v48, v118, v119, v48                            // 000000002F28: D1D30030 04C2EF76
	v_max3_f32 v48, v120, v121, v48                            // 000000002F30: D1D30030 04C2F378
	v_max3_f32 v48, v122, v123, v48                            // 000000002F38: D1D30030 04C2F77A
	v_max3_f32 v48, v124, v125, v48                            // 000000002F40: D1D30030 04C2FB7C
	v_max3_f32 v48, v126, v127, v48                            // 000000002F48: D1D30030 04C2FF7E
	ds_write_b32 v8, v48 offset:16896                          // 000000002F50: D81A4200 00003008
	buffer_load_dwordx4 a[56:59], v29, s[16:19], 0 offen       // 000000002F58: E05C1000 8084381D
	v_mul_u32_u24_dpp v64, v17, v54 row_newbcast:1 row_mask:0xf bank_mask:0xf// 000000002F60: 10806CFA FF015111
	v_mul_u32_u24_dpp v65, v17, v54 row_newbcast:5 row_mask:0xf bank_mask:0xf// 000000002F68: 10826CFA FF015511
	v_mul_u32_u24_dpp v66, v17, v54 row_newbcast:9 row_mask:0xf bank_mask:0xf// 000000002F70: 10846CFA FF015911
	v_mul_u32_u24_dpp v67, v17, v54 row_newbcast:13 row_mask:0xf bank_mask:0xf// 000000002F78: 10866CFA FF015D11
	v_add_u32_e32 v34, v64, v6                                 // 000000002F80: 68440D40
	v_add_u32_e32 v35, v65, v6                                 // 000000002F84: 68460D41
	v_add_u32_e32 v36, v66, v6                                 // 000000002F88: 68480D42
	v_add_u32_e32 v37, v67, v6                                 // 000000002F8C: 684A0D43
	v_mul_f32_e32 v208, v49, v208                              // 000000002F90: 0BA1A131
	v_mul_f32_e32 v209, v49, v209                              // 000000002F94: 0BA3A331
	v_mul_f32_e32 v210, v49, v210                              // 000000002F98: 0BA5A531
	v_mul_f32_e32 v211, v49, v211                              // 000000002F9C: 0BA7A731
	v_mul_f32_e32 v212, v49, v212                              // 000000002FA0: 0BA9A931
	v_mul_f32_e32 v213, v49, v213                              // 000000002FA4: 0BABAB31
	v_mul_f32_e32 v214, v49, v214                              // 000000002FA8: 0BADAD31
	v_mul_f32_e32 v215, v49, v215                              // 000000002FAC: 0BAFAF31
	s_waitcnt lgkmcnt(0)                                       // 000000002FB0: BF8CC07F
	s_barrier                                                  // 000000002FB4: BF8A0000
	ds_read_b32 v64, v7 offset:16896                           // 000000002FB8: D86C4200 40000007
	ds_read_b32 v65, v7 offset:16960                           // 000000002FC0: D86C4240 41000007
	ds_read_b32 v66, v7 offset:17024                           // 000000002FC8: D86C4280 42000007
	ds_read_b32 v67, v7 offset:17088                           // 000000002FD0: D86C42C0 43000007
	ds_read_b32 v68, v7 offset:17152                           // 000000002FD8: D86C4300 44000007
	ds_read_b32 v69, v7 offset:17216                           // 000000002FE0: D86C4340 45000007
	ds_read_b32 v70, v7 offset:17280                           // 000000002FE8: D86C4380 46000007
	ds_read_b32 v71, v7 offset:17344                           // 000000002FF0: D86C43C0 47000007
	ds_read_b32 v72, v7 offset:17408                           // 000000002FF8: D86C4400 48000007
	ds_read_b32 v73, v7 offset:17472                           // 000000003000: D86C4440 49000007
	ds_read_b32 v74, v7 offset:17536                           // 000000003008: D86C4480 4A000007
	ds_read_b32 v75, v7 offset:17600                           // 000000003010: D86C44C0 4B000007
	ds_read_b32 v76, v7 offset:17664                           // 000000003018: D86C4500 4C000007
	ds_read_b32 v77, v7 offset:17728                           // 000000003020: D86C4540 4D000007
	ds_read_b32 v78, v7 offset:17792                           // 000000003028: D86C4580 4E000007
	ds_read_b32 v79, v7 offset:17856                           // 000000003030: D86C45C0 4F000007
	buffer_load_dwordx4 a[60:63], v29, s[16:19], 0 offen offset:1024// 000000003038: E05C1400 80843C1D
	v_cvt_f32_i32_e32 v176, v176                               // 000000003040: 7F600BB0
	v_cvt_f32_i32_e32 v177, v177                               // 000000003044: 7F620BB1
	v_cvt_f32_i32_e32 v178, v178                               // 000000003048: 7F640BB2
	v_cvt_f32_i32_e32 v179, v179                               // 00000000304C: 7F660BB3
	v_cvt_f32_i32_e32 v180, v180                               // 000000003050: 7F680BB4
	v_cvt_f32_i32_e32 v181, v181                               // 000000003054: 7F6A0BB5
	v_cvt_f32_i32_e32 v182, v182                               // 000000003058: 7F6C0BB6
	v_cvt_f32_i32_e32 v183, v183                               // 00000000305C: 7F6E0BB7
	v_mul_f32_e32 v176, v44, v176                              // 000000003060: 0B61612C
	v_mul_f32_e32 v177, v44, v177                              // 000000003064: 0B63632C
	v_mul_f32_e32 v178, v44, v178                              // 000000003068: 0B65652C
	v_mul_f32_e32 v179, v44, v179                              // 00000000306C: 0B67672C
	v_mul_f32_e32 v180, v44, v180                              // 000000003070: 0B69692C
	v_mul_f32_e32 v181, v44, v181                              // 000000003074: 0B6B6B2C
	v_mul_f32_e32 v182, v44, v182                              // 000000003078: 0B6D6D2C
	v_mul_f32_e32 v183, v44, v183                              // 00000000307C: 0B6F6F2C
	s_waitcnt lgkmcnt(0)                                       // 000000003080: BF8CC07F
	v_max3_f32 v48, v64, v65, v48                              // 000000003084: D1D30030 04C28340
	v_max3_f32 v48, v66, v67, v48                              // 00000000308C: D1D30030 04C28742
	v_max3_f32 v48, v68, v69, v48                              // 000000003094: D1D30030 04C28B44
	v_max3_f32 v48, v70, v71, v48                              // 00000000309C: D1D30030 04C28F46
	v_max3_f32 v48, v72, v73, v48                              // 0000000030A4: D1D30030 04C29348
	v_max3_f32 v48, v74, v75, v48                              // 0000000030AC: D1D30030 04C2974A
	v_max3_f32 v48, v76, v77, v48                              // 0000000030B4: D1D30030 04C29B4C
	v_max3_f32 v48, v78, v79, v48                              // 0000000030BC: D1D30030 04C29F4E
	buffer_load_dwordx4 a[96:99], v34, s[20:23], 0 offen       // 0000000030C4: E05C1000 80856022
	v_mov_b32_e32 v64, 0xff800000                              // 0000000030CC: 7E8002FF FF800000
	v_cmp_eq_u32_e64 s[40:41], v64, v11                        // 0000000030D4: D0CA0028 00021740
	s_nop 1                                                    // 0000000030DC: BF800001
	v_max_f32_e32 v15, v48, v11                                // 0000000030E0: 161E1730
	v_mul_f32_e32 v53, s64, v15                                // 0000000030E4: 0A6A1E40
	v_fma_f32 v112, v112, s64, -v53                            // 0000000030E8: D1CB0070 84D48170
	v_fma_f32 v113, v113, s64, -v53                            // 0000000030F0: D1CB0071 84D48171
	v_fma_f32 v114, v114, s64, -v53                            // 0000000030F8: D1CB0072 84D48172
	v_fma_f32 v115, v115, s64, -v53                            // 000000003100: D1CB0073 84D48173
	v_fma_f32 v116, v116, s64, -v53                            // 000000003108: D1CB0074 84D48174
	v_fma_f32 v117, v117, s64, -v53                            // 000000003110: D1CB0075 84D48175
	v_fma_f32 v118, v118, s64, -v53                            // 000000003118: D1CB0076 84D48176
	v_fma_f32 v119, v119, s64, -v53                            // 000000003120: D1CB0077 84D48177
	v_fma_f32 v120, v120, s64, -v53                            // 000000003128: D1CB0078 84D48178
	v_fma_f32 v121, v121, s64, -v53                            // 000000003130: D1CB0079 84D48179
	v_fma_f32 v122, v122, s64, -v53                            // 000000003138: D1CB007A 84D4817A
	v_fma_f32 v123, v123, s64, -v53                            // 000000003140: D1CB007B 84D4817B
	v_fma_f32 v124, v124, s64, -v53                            // 000000003148: D1CB007C 84D4817C
	v_fma_f32 v125, v125, s64, -v53                            // 000000003150: D1CB007D 84D4817D
	v_fma_f32 v126, v126, s64, -v53                            // 000000003158: D1CB007E 84D4817E
	v_fma_f32 v127, v127, s64, -v53                            // 000000003160: D1CB007F 84D4817F
	buffer_load_dwordx4 a[100:103], v35, s[20:23], 0 offen     // 000000003168: E05C1000 80856423
	v_exp_f32_e32 v112, v112                                   // 000000003170: 7EE04170
	v_exp_f32_e32 v113, v113                                   // 000000003174: 7EE24171
	v_exp_f32_e32 v114, v114                                   // 000000003178: 7EE44172
	v_exp_f32_e32 v115, v115                                   // 00000000317C: 7EE64173
	v_exp_f32_e32 v116, v116                                   // 000000003180: 7EE84174
	v_exp_f32_e32 v117, v117                                   // 000000003184: 7EEA4175
	v_exp_f32_e32 v118, v118                                   // 000000003188: 7EEC4176
	v_exp_f32_e32 v119, v119                                   // 00000000318C: 7EEE4177
	v_exp_f32_e32 v120, v120                                   // 000000003190: 7EF04178
	v_exp_f32_e32 v121, v121                                   // 000000003194: 7EF24179
	v_exp_f32_e32 v122, v122                                   // 000000003198: 7EF4417A
	v_exp_f32_e32 v123, v123                                   // 00000000319C: 7EF6417B
	v_exp_f32_e32 v124, v124                                   // 0000000031A0: 7EF8417C
	v_exp_f32_e32 v125, v125                                   // 0000000031A4: 7EFA417D
	v_exp_f32_e32 v126, v126                                   // 0000000031A8: 7EFC417E
	v_exp_f32_e32 v127, v127                                   // 0000000031AC: 7EFE417F
	buffer_load_dwordx4 a[104:107], v36, s[20:23], 0 offen     // 0000000031B0: E05C1000 80856824
	v_mul_f32_dpp v240, v252, v112 quad_perm:[0,0,0,0] row_mask:0xf bank_mask:0xf// 0000000031B8: 0BE0E0FA FF0000FC
	v_mul_f32_dpp v241, v252, v113 quad_perm:[1,1,1,1] row_mask:0xf bank_mask:0xf// 0000000031C0: 0BE2E2FA FF0055FC
	v_mul_f32_dpp v242, v252, v114 quad_perm:[2,2,2,2] row_mask:0xf bank_mask:0xf// 0000000031C8: 0BE4E4FA FF00AAFC
	v_mul_f32_dpp v243, v252, v115 quad_perm:[3,3,3,3] row_mask:0xf bank_mask:0xf// 0000000031D0: 0BE6E6FA FF00FFFC
	v_mul_f32_dpp v244, v253, v116 quad_perm:[0,0,0,0] row_mask:0xf bank_mask:0xf// 0000000031D8: 0BE8E8FA FF0000FD
	v_mul_f32_dpp v245, v253, v117 quad_perm:[1,1,1,1] row_mask:0xf bank_mask:0xf// 0000000031E0: 0BEAEAFA FF0055FD
	v_mul_f32_dpp v246, v253, v118 quad_perm:[2,2,2,2] row_mask:0xf bank_mask:0xf// 0000000031E8: 0BECECFA FF00AAFD
	v_mul_f32_dpp v247, v253, v119 quad_perm:[3,3,3,3] row_mask:0xf bank_mask:0xf// 0000000031F0: 0BEEEEFA FF00FFFD
	v_mul_f32_dpp v248, v254, v120 quad_perm:[0,0,0,0] row_mask:0xf bank_mask:0xf// 0000000031F8: 0BF0F0FA FF0000FE
	v_mul_f32_dpp v249, v254, v121 quad_perm:[1,1,1,1] row_mask:0xf bank_mask:0xf// 000000003200: 0BF2F2FA FF0055FE
	v_mul_f32_dpp v250, v254, v122 quad_perm:[2,2,2,2] row_mask:0xf bank_mask:0xf// 000000003208: 0BF4F4FA FF00AAFE
	v_mul_f32_dpp v251, v254, v123 quad_perm:[3,3,3,3] row_mask:0xf bank_mask:0xf// 000000003210: 0BF6F6FA FF00FFFE
	v_mul_f32_dpp v252, v255, v124 quad_perm:[0,0,0,0] row_mask:0xf bank_mask:0xf// 000000003218: 0BF8F8FA FF0000FF
	v_mul_f32_dpp v253, v255, v125 quad_perm:[1,1,1,1] row_mask:0xf bank_mask:0xf// 000000003220: 0BFAFAFA FF0055FF
	v_mul_f32_dpp v254, v255, v126 quad_perm:[2,2,2,2] row_mask:0xf bank_mask:0xf// 000000003228: 0BFCFCFA FF00AAFF
	v_mul_f32_dpp v255, v255, v127 quad_perm:[3,3,3,3] row_mask:0xf bank_mask:0xf// 000000003230: 0BFEFEFA FF00FFFF
	v_mov_b32_e32 v48, 0x358637bd                              // 000000003238: 7E6002FF 358637BD
	v_max3_f32 v48, |v240|, |v241|, v48                        // 000000003240: D1D30330 04C3E3F0
	v_max3_f32 v48, |v242|, |v243|, v48                        // 000000003248: D1D30330 04C3E7F2
	v_max3_f32 v48, |v244|, |v245|, v48                        // 000000003250: D1D30330 04C3EBF4
	v_max3_f32 v48, |v246|, |v247|, v48                        // 000000003258: D1D30330 04C3EFF6
	v_max3_f32 v48, |v248|, |v249|, v48                        // 000000003260: D1D30330 04C3F3F8
	v_max3_f32 v48, |v250|, |v251|, v48                        // 000000003268: D1D30330 04C3F7FA
	v_max3_f32 v48, |v252|, |v253|, v48                        // 000000003270: D1D30330 04C3FBFC
	v_max3_f32 v48, |v254|, |v255|, v48                        // 000000003278: D1D30330 04C3FFFE
	buffer_load_dwordx4 a[108:111], v37, s[20:23], 0 offen     // 000000003280: E05C1000 80856C25
	ds_write_b32 v8, v48 offset:20992                          // 000000003288: D81A5200 00003008
	v_sub_f32_e32 v49, v11, v15                                // 000000003290: 04621F0B
	v_cndmask_b32_e64 v49, v49, 0, s[40:41]                    // 000000003294: D1000031 00A10131
	v_mov_b32_e32 v11, v15                                     // 00000000329C: 7E16030F
	v_mul_f32_e32 v49, s64, v49                                // 0000000032A0: 0A626240
	v_exp_f32_e32 v49, v49                                     // 0000000032A4: 7E624131
	s_waitcnt lgkmcnt(0)                                       // 0000000032A8: BF8CC07F
	s_barrier                                                  // 0000000032AC: BF8A0000
	ds_read_b32 v64, v7 offset:20992                           // 0000000032B0: D86C5200 40000007
	ds_read_b32 v65, v7 offset:21056                           // 0000000032B8: D86C5240 41000007
	ds_read_b32 v66, v7 offset:21120                           // 0000000032C0: D86C5280 42000007
	ds_read_b32 v67, v7 offset:21184                           // 0000000032C8: D86C52C0 43000007
	ds_read_b32 v68, v7 offset:21248                           // 0000000032D0: D86C5300 44000007
	ds_read_b32 v69, v7 offset:21312                           // 0000000032D8: D86C5340 45000007
	ds_read_b32 v70, v7 offset:21376                           // 0000000032E0: D86C5380 46000007
	ds_read_b32 v71, v7 offset:21440                           // 0000000032E8: D86C53C0 47000007
	ds_read_b32 v72, v7 offset:21504                           // 0000000032F0: D86C5400 48000007
	ds_read_b32 v73, v7 offset:21568                           // 0000000032F8: D86C5440 49000007
	ds_read_b32 v74, v7 offset:21632                           // 000000003300: D86C5480 4A000007
	ds_read_b32 v75, v7 offset:21696                           // 000000003308: D86C54C0 4B000007
	ds_read_b32 v76, v7 offset:21760                           // 000000003310: D86C5500 4C000007
	ds_read_b32 v77, v7 offset:21824                           // 000000003318: D86C5540 4D000007
	ds_read_b32 v78, v7 offset:21888                           // 000000003320: D86C5580 4E000007
	ds_read_b32 v79, v7 offset:21952                           // 000000003328: D86C55C0 4F000007
	v_mul_f32_e32 v38, v49, v38                                // 000000003330: 0A4C4D31
	v_mov_b32_e32 v15, v112                                    // 000000003334: 7E1E0370
	v_add_f32_e32 v15, v113, v15                               // 000000003338: 021E1F71
	v_add_f32_e32 v15, v114, v15                               // 00000000333C: 021E1F72
	v_add_f32_e32 v15, v115, v15                               // 000000003340: 021E1F73
	v_add_f32_e32 v15, v116, v15                               // 000000003344: 021E1F74
	v_add_f32_e32 v15, v117, v15                               // 000000003348: 021E1F75
	v_add_f32_e32 v15, v118, v15                               // 00000000334C: 021E1F76
	v_add_f32_e32 v15, v119, v15                               // 000000003350: 021E1F77
	v_add_f32_e32 v15, v120, v15                               // 000000003354: 021E1F78
	v_add_f32_e32 v15, v121, v15                               // 000000003358: 021E1F79
	v_add_f32_e32 v15, v122, v15                               // 00000000335C: 021E1F7A
	v_add_f32_e32 v15, v123, v15                               // 000000003360: 021E1F7B
	v_add_f32_e32 v15, v124, v15                               // 000000003364: 021E1F7C
	v_add_f32_e32 v15, v125, v15                               // 000000003368: 021E1F7D
	v_add_f32_e32 v15, v126, v15                               // 00000000336C: 021E1F7E
	v_add_f32_e32 v15, v127, v15                               // 000000003370: 021E1F7F
	v_add_f32_e32 v38, v15, v38                                // 000000003374: 024C4D0F
	s_waitcnt lgkmcnt(0)                                       // 000000003378: BF8CC07F
	v_max3_f32 v48, |v64|, |v65|, v48                          // 00000000337C: D1D30330 04C28340
	v_max3_f32 v48, |v66|, |v67|, v48                          // 000000003384: D1D30330 04C28742
	v_max3_f32 v48, |v68|, |v69|, v48                          // 00000000338C: D1D30330 04C28B44
	v_max3_f32 v48, |v70|, |v71|, v48                          // 000000003394: D1D30330 04C28F46
	v_max3_f32 v48, |v72|, |v73|, v48                          // 00000000339C: D1D30330 04C29348
	v_max3_f32 v48, |v74|, |v75|, v48                          // 0000000033A4: D1D30330 04C2974A
	v_max3_f32 v48, |v76|, |v77|, v48                          // 0000000033AC: D1D30330 04C29B4C
	v_max3_f32 v48, |v78|, |v79|, v48                          // 0000000033B4: D1D30330 04C29F4E
	s_nop 2                                                    // 0000000033BC: BF800002
	v_rcp_f32_e32 v48, v48                                     // 0000000033C0: 7E604530
	s_nop 1                                                    // 0000000033C4: BF800001
	v_mul_f32_e32 v48, 0x42fe0000, v48                         // 0000000033C8: 0A6060FF 42FE0000
	v_mul_f32_e32 v112, v48, v240                              // 0000000033D0: 0AE1E130
	v_mul_f32_e32 v113, v48, v241                              // 0000000033D4: 0AE3E330
	v_mul_f32_e32 v114, v48, v242                              // 0000000033D8: 0AE5E530
	v_mul_f32_e32 v115, v48, v243                              // 0000000033DC: 0AE7E730
	v_mul_f32_e32 v116, v48, v244                              // 0000000033E0: 0AE9E930
	v_mul_f32_e32 v117, v48, v245                              // 0000000033E4: 0AEBEB30
	v_mul_f32_e32 v118, v48, v246                              // 0000000033E8: 0AEDED30
	v_mul_f32_e32 v119, v48, v247                              // 0000000033EC: 0AEFEF30
	v_mul_f32_e32 v120, v48, v248                              // 0000000033F0: 0AF1F130
	v_mul_f32_e32 v121, v48, v249                              // 0000000033F4: 0AF3F330
	v_mul_f32_e32 v122, v48, v250                              // 0000000033F8: 0AF5F530
	v_mul_f32_e32 v123, v48, v251                              // 0000000033FC: 0AF7F730
	v_mul_f32_e32 v124, v48, v252                              // 000000003400: 0AF9F930
	v_mul_f32_e32 v125, v48, v253                              // 000000003404: 0AFBFB30
	v_mul_f32_e32 v126, v48, v254                              // 000000003408: 0AFDFD30
	v_mul_f32_e32 v127, v48, v255                              // 00000000340C: 0AFFFF30
	v_cvt_i32_f32_e32 v112, v112                               // 000000003410: 7EE01170
	v_cvt_i32_f32_e32 v113, v113                               // 000000003414: 7EE21171
	v_cvt_i32_f32_e32 v114, v114                               // 000000003418: 7EE41172
	v_cvt_i32_f32_e32 v115, v115                               // 00000000341C: 7EE61173
	v_cvt_i32_f32_e32 v116, v116                               // 000000003420: 7EE81174
	v_cvt_i32_f32_e32 v117, v117                               // 000000003424: 7EEA1175
	v_cvt_i32_f32_e32 v118, v118                               // 000000003428: 7EEC1176
	v_cvt_i32_f32_e32 v119, v119                               // 00000000342C: 7EEE1177
	v_cvt_i32_f32_e32 v120, v120                               // 000000003430: 7EF01178
	v_cvt_i32_f32_e32 v121, v121                               // 000000003434: 7EF21179
	v_cvt_i32_f32_e32 v122, v122                               // 000000003438: 7EF4117A
	v_cvt_i32_f32_e32 v123, v123                               // 00000000343C: 7EF6117B
	v_cvt_i32_f32_e32 v124, v124                               // 000000003440: 7EF8117C
	v_cvt_i32_f32_e32 v125, v125                               // 000000003444: 7EFA117D
	v_cvt_i32_f32_e32 v126, v126                               // 000000003448: 7EFC117E
	v_cvt_i32_f32_e32 v127, v127                               // 00000000344C: 7EFE117F
	v_perm_b32 v112, v113, v112, s53                           // 000000003450: D1ED0070 00D6E171
	v_perm_b32 v112, v114, v112, s54                           // 000000003458: D1ED0070 00DAE172
	v_perm_b32 v112, v115, v112, s55                           // 000000003460: D1ED0070 00DEE173
	v_perm_b32 v113, v117, v116, s53                           // 000000003468: D1ED0071 00D6E975
	v_perm_b32 v113, v118, v113, s54                           // 000000003470: D1ED0071 00DAE376
	v_perm_b32 v113, v119, v113, s55                           // 000000003478: D1ED0071 00DEE377
	v_perm_b32 v114, v121, v120, s53                           // 000000003480: D1ED0072 00D6F179
	v_perm_b32 v114, v122, v114, s54                           // 000000003488: D1ED0072 00DAE57A
	v_perm_b32 v114, v123, v114, s55                           // 000000003490: D1ED0072 00DEE57B
	v_perm_b32 v115, v125, v124, s53                           // 000000003498: D1ED0073 00D6F97D
	v_perm_b32 v115, v126, v115, s54                           // 0000000034A0: D1ED0073 00DAE77E
	v_perm_b32 v115, v127, v115, s55                           // 0000000034A8: D1ED0073 00DEE77F
	ds_write_b32 v10, v112 offset:25088                        // 0000000034B0: D81A6200 0000700A
	ds_write_b32 v10, v113 offset:26112                        // 0000000034B8: D81A6600 0000710A
	ds_write_b32 v10, v114 offset:27136                        // 0000000034C0: D81A6A00 0000720A
	ds_write_b32 v10, v115 offset:28160                        // 0000000034C8: D81A6E00 0000730A
	v_add_f32_e32 v208, v208, v176                             // 0000000034D0: 03A161D0
	v_add_f32_e32 v209, v209, v177                             // 0000000034D4: 03A363D1
	v_add_f32_e32 v210, v210, v178                             // 0000000034D8: 03A565D2
	v_add_f32_e32 v211, v211, v179                             // 0000000034DC: 03A767D3
	v_add_f32_e32 v212, v212, v180                             // 0000000034E0: 03A969D4
	v_add_f32_e32 v213, v213, v181                             // 0000000034E4: 03AB6BD5
	v_add_f32_e32 v214, v214, v182                             // 0000000034E8: 03AD6DD6
	v_add_f32_e32 v215, v215, v183                             // 0000000034EC: 03AF6FD7
	v_rcp_f32_e32 v44, v48                                     // 0000000034F0: 7E584530
	s_waitcnt lgkmcnt(0)                                       // 0000000034F4: BF8CC07F
	s_barrier                                                  // 0000000034F8: BF8A0000
	ds_read_b64 v[112:113], v9 offset:25088                    // 0000000034FC: D8EC6200 70000009
	ds_read_b64 v[114:115], v9 offset:25216                    // 000000003504: D8EC6280 72000009
	ds_read_b64 v[116:117], v9 offset:26112                    // 00000000350C: D8EC6600 74000009
	ds_read_b64 v[118:119], v9 offset:26240                    // 000000003514: D8EC6680 76000009
	ds_read_b64 v[120:121], v9 offset:27136                    // 00000000351C: D8EC6A00 78000009
	ds_read_b64 v[122:123], v9 offset:27264                    // 000000003524: D8EC6A80 7A000009
	ds_read_b64 v[124:125], v9 offset:28160                    // 00000000352C: D8EC6E00 7C000009
	ds_read_b64 v[126:127], v9 offset:28288                    // 000000003534: D8EC6E80 7E000009
	s_waitcnt vmcnt(15)                                        // 00000000353C: BF8C0F7F
	s_waitcnt lgkmcnt(7)                                       // 000000003540: BF8CC77F
	v_mfma_i32_16x16x32_i8 v[176:179], a[64:65], v[112:113], 0 // 000000003544: D3D700B0 0A02E140
	s_waitcnt lgkmcnt(6)                                       // 00000000354C: BF8CC67F
	v_mfma_i32_16x16x32_i8 v[176:179], a[66:67], v[114:115], v[176:179]// 000000003550: D3D700B0 0EC2E542
	buffer_load_dwordx4 a[112:115], v34, s[20:23], 0 offen offset:1024// 000000003558: E05C1400 80857022
	s_waitcnt lgkmcnt(5)                                       // 000000003560: BF8CC57F
	v_mfma_i32_16x16x32_i8 v[176:179], a[68:69], v[116:117], v[176:179]// 000000003564: D3D700B0 0EC2E944
	s_waitcnt lgkmcnt(4)                                       // 00000000356C: BF8CC47F
	v_mfma_i32_16x16x32_i8 v[176:179], a[70:71], v[118:119], v[176:179]// 000000003570: D3D700B0 0EC2ED46
	s_waitcnt lgkmcnt(3)                                       // 000000003578: BF8CC37F
	v_mfma_i32_16x16x32_i8 v[176:179], a[72:73], v[120:121], v[176:179]// 00000000357C: D3D700B0 0EC2F148
	s_waitcnt lgkmcnt(2)                                       // 000000003584: BF8CC27F
	v_mfma_i32_16x16x32_i8 v[176:179], a[74:75], v[122:123], v[176:179]// 000000003588: D3D700B0 0EC2F54A
	buffer_load_dwordx4 a[116:119], v35, s[20:23], 0 offen offset:1024// 000000003590: E05C1400 80857423
	s_waitcnt lgkmcnt(1)                                       // 000000003598: BF8CC17F
	v_mfma_i32_16x16x32_i8 v[176:179], a[76:77], v[124:125], v[176:179]// 00000000359C: D3D700B0 0EC2F94C
	s_waitcnt lgkmcnt(0)                                       // 0000000035A4: BF8CC07F
	v_mfma_i32_16x16x32_i8 v[176:179], a[78:79], v[126:127], v[176:179]// 0000000035A8: D3D700B0 0EC2FD4E
	v_mfma_i32_16x16x32_i8 v[180:183], a[80:81], v[112:113], 0 // 0000000035B0: D3D700B4 0A02E150
	v_mfma_i32_16x16x32_i8 v[180:183], a[82:83], v[114:115], v[180:183]// 0000000035B8: D3D700B4 0ED2E552
	buffer_load_dwordx4 a[120:123], v36, s[20:23], 0 offen offset:1024// 0000000035C0: E05C1400 80857824
	v_mfma_i32_16x16x32_i8 v[180:183], a[84:85], v[116:117], v[180:183]// 0000000035C8: D3D700B4 0ED2E954
	v_mfma_i32_16x16x32_i8 v[180:183], a[86:87], v[118:119], v[180:183]// 0000000035D0: D3D700B4 0ED2ED56
	v_mfma_i32_16x16x32_i8 v[180:183], a[88:89], v[120:121], v[180:183]// 0000000035D8: D3D700B4 0ED2F158
	v_mfma_i32_16x16x32_i8 v[180:183], a[90:91], v[122:123], v[180:183]// 0000000035E0: D3D700B4 0ED2F55A
	buffer_load_dwordx4 a[124:127], v37, s[20:23], 0 offen offset:1024// 0000000035E8: E05C1400 80857C25
	v_mfma_i32_16x16x32_i8 v[180:183], a[92:93], v[124:125], v[180:183]// 0000000035F0: D3D700B4 0ED2F95C
	s_lshr_b32 s57, s70, 4                                     // 0000000035F8: 8F398446
	s_add_u32 s57, 48, s57                                     // 0000000035FC: 803939B0
	v_mfma_i32_16x16x32_i8 v[180:183], a[94:95], v[126:127], v[180:183]// 000000003600: D3D700B4 0ED2FD5E
	s_cmp_ge_u32 s57, s73                                      // 000000003608: BF094939
	s_cselect_b32 s56, 0, s56                                  // 00000000360C: 85383880
	v_add_u32_e32 v1, s56, v1                                  // 000000003610: 68020238
	s_addk_i32 s70, 0x100                                      // 000000003614: B7460100
	s_cmp_lt_i32 s70, s71                                      // 000000003618: BF044746
	s_cbranch_scc0 label_07FB                                  // 00000000361C: BF8402F3
	s_waitcnt vmcnt(8) lgkmcnt(0)                              // 000000003620: BF8C0078
	v_mul_u32_u24_dpp v64, v16, v54 row_newbcast:0 row_mask:0xf bank_mask:0xf// 000000003624: 10806CFA FF015010
	v_mul_u32_u24_dpp v65, v16, v54 row_newbcast:4 row_mask:0xf bank_mask:0xf// 00000000362C: 10826CFA FF015410
	v_mul_u32_u24_dpp v66, v16, v54 row_newbcast:8 row_mask:0xf bank_mask:0xf// 000000003634: 10846CFA FF015810
	v_mul_u32_u24_dpp v67, v16, v54 row_newbcast:12 row_mask:0xf bank_mask:0xf// 00000000363C: 10866CFA FF015C10
	v_add_u32_e32 v22, v64, v5                                 // 000000003644: 682C0B40
	v_add_u32_e32 v23, v65, v5                                 // 000000003648: 682E0B41
	v_add_u32_e32 v24, v66, v5                                 // 00000000364C: 68300B42
	v_add_u32_e32 v25, v67, v5                                 // 000000003650: 68320B43
	v_mul_u32_u24_dpp v64, v16, v63 quad_perm:[0,0,0,0] row_mask:0xf bank_mask:0xf// 000000003654: 10807EFA FF000010
	v_add_u32_e32 v2, v64, v59                                 // 00000000365C: 68047740
	v_mul_u32_u24_dpp v64, v16, v63 quad_perm:[0,0,0,0] row_mask:0xf bank_mask:0xf// 000000003660: 10807EFA FF000010
	v_add_u32_e32 v55, v64, v60                                // 000000003668: 686E7940
	v_mfma_i32_16x16x32_i8 v[112:115], a[32:33], v[80:81], 0   // 00000000366C: D3D70070 0A02A120
	v_mfma_i32_16x16x32_i8 v[112:115], a[34:35], v[82:83], v[112:115]// 000000003674: D3D70070 0DC2A522
	buffer_load_dwordx4 a[0:3], v22, s[16:19], 0 offen         // 00000000367C: E05C1000 80840016
	v_mfma_i32_16x16x32_i8 v[112:115], a[36:37], v[84:85], v[112:115]// 000000003684: D3D70070 0DC2A924
	v_mfma_i32_16x16x32_i8 v[112:115], a[38:39], v[86:87], v[112:115]// 00000000368C: D3D70070 0DC2AD26
	buffer_load_dword v17, v1, s[24:27], 0 offen               // 000000003694: E0501000 80061101
	v_mfma_i32_16x16x32_i8 v[116:119], a[40:41], v[80:81], 0   // 00000000369C: D3D70074 0A02A128
	v_mfma_i32_16x16x32_i8 v[116:119], a[42:43], v[82:83], v[116:119]// 0000000036A4: D3D70074 0DD2A52A
	buffer_load_dwordx4 a[4:7], v22, s[16:19], 0 offen offset:1024// 0000000036AC: E05C1400 80840416
	v_mfma_i32_16x16x32_i8 v[116:119], a[44:45], v[84:85], v[116:119]// 0000000036B4: D3D70074 0DD2A92C
	v_mfma_i32_16x16x32_i8 v[116:119], a[46:47], v[86:87], v[116:119]// 0000000036BC: D3D70074 0DD2AD2E
	v_mfma_i32_16x16x32_i8 v[120:123], a[48:49], v[80:81], 0   // 0000000036C4: D3D70078 0A02A130
	v_mfma_i32_16x16x32_i8 v[120:123], a[50:51], v[82:83], v[120:123]// 0000000036CC: D3D70078 0DE2A532
	buffer_load_dwordx4 a[8:11], v23, s[16:19], 0 offen        // 0000000036D4: E05C1000 80840817
	v_mfma_i32_16x16x32_i8 v[120:123], a[52:53], v[84:85], v[120:123]// 0000000036DC: D3D70078 0DE2A934
	v_mfma_i32_16x16x32_i8 v[120:123], a[54:55], v[86:87], v[120:123]// 0000000036E4: D3D70078 0DE2AD36
	v_mfma_i32_16x16x32_i8 v[124:127], a[56:57], v[80:81], 0   // 0000000036EC: D3D7007C 0A02A138
	v_mfma_i32_16x16x32_i8 v[124:127], a[58:59], v[82:83], v[124:127]// 0000000036F4: D3D7007C 0DF2A53A
	buffer_load_dwordx4 a[12:15], v23, s[16:19], 0 offen offset:1024// 0000000036FC: E05C1400 80840C17
	v_mfma_i32_16x16x32_i8 v[124:127], a[60:61], v[84:85], v[124:127]// 000000003704: D3D7007C 0DF2A93C
	v_mfma_i32_16x16x32_i8 v[124:127], a[62:63], v[86:87], v[124:127]// 00000000370C: D3D7007C 0DF2AD3E
	buffer_load_dword v42, v2, s[32:35], 0 offen               // 000000003714: E0501000 80082A02
	v_mov_b32_dpp v64, v43 row_shr:4 row_mask:0xf bank_mask:0xf// 00000000371C: 7E8002FA FF01142B
	v_mov_b32_dpp v65, v43 row_shl:4 row_mask:0xf bank_mask:0xf// 000000003724: 7E8202FA FF01042B
	v_cndmask_b32_e64 v248, v43, v64, s[44:45]                 // 00000000372C: D10000F8 00B2812B
	v_cndmask_b32_e64 v249, v65, v43, s[44:45]                 // 000000003734: D10000F9 00B25741
	v_mov_b32_dpp v64, v248 row_shr:8 row_mask:0xf bank_mask:0xf// 00000000373C: 7E8002FA FF0118F8
	v_mov_b32_dpp v65, v248 row_shl:8 row_mask:0xf bank_mask:0xf// 000000003744: 7E8202FA FF0108F8
	v_mov_b32_dpp v66, v249 row_shr:8 row_mask:0xf bank_mask:0xf// 00000000374C: 7E8402FA FF0118F9
	v_mov_b32_dpp v67, v249 row_shl:8 row_mask:0xf bank_mask:0xf// 000000003754: 7E8602FA FF0108F9
	v_mov_b32_e32 v68, v248                                    // 00000000375C: 7E8803F8
	v_mov_b32_e32 v69, v249                                    // 000000003760: 7E8A03F9
	v_cndmask_b32_e64 v248, v68, v64, s[42:43]                 // 000000003764: D10000F8 00AA8144
	v_cndmask_b32_e64 v250, v68, v65, s[78:79]                 // 00000000376C: D10000FA 013A8344
	v_cndmask_b32_e64 v249, v69, v66, s[42:43]                 // 000000003774: D10000F9 00AA8545
	v_cndmask_b32_e64 v251, v69, v67, s[78:79]                 // 00000000377C: D10000FB 013A8745
	v_mov_b32_dpp v64, v58 row_shr:4 row_mask:0xf bank_mask:0xf// 000000003784: 7E8002FA FF01143A
	v_mov_b32_dpp v65, v58 row_shl:4 row_mask:0xf bank_mask:0xf// 00000000378C: 7E8202FA FF01043A
	v_cndmask_b32_e64 v252, v58, v64, s[44:45]                 // 000000003794: D10000FC 00B2813A
	v_cndmask_b32_e64 v253, v65, v58, s[44:45]                 // 00000000379C: D10000FD 00B27541
	v_mov_b32_dpp v64, v252 row_shr:8 row_mask:0xf bank_mask:0xf// 0000000037A4: 7E8002FA FF0118FC
	v_mov_b32_dpp v65, v252 row_shl:8 row_mask:0xf bank_mask:0xf// 0000000037AC: 7E8202FA FF0108FC
	v_mov_b32_dpp v66, v253 row_shr:8 row_mask:0xf bank_mask:0xf// 0000000037B4: 7E8402FA FF0118FD
	v_mov_b32_dpp v67, v253 row_shl:8 row_mask:0xf bank_mask:0xf// 0000000037BC: 7E8602FA FF0108FD
	v_mov_b32_e32 v68, v252                                    // 0000000037C4: 7E8803FC
	v_mov_b32_e32 v69, v253                                    // 0000000037C8: 7E8A03FD
	v_cndmask_b32_e64 v252, v68, v64, s[42:43]                 // 0000000037CC: D10000FC 00AA8144
	v_cndmask_b32_e64 v254, v68, v65, s[78:79]                 // 0000000037D4: D10000FE 013A8344
	v_cndmask_b32_e64 v253, v69, v66, s[42:43]                 // 0000000037DC: D10000FD 00AA8545
	v_cndmask_b32_e64 v255, v69, v67, s[78:79]                 // 0000000037E4: D10000FF 013A8745
	buffer_load_dword v57, v55, s[36:39], 0 offen              // 0000000037EC: E0501000 80093937
	v_cvt_f32_i32_e32 v112, v112                               // 0000000037F4: 7EE00B70
	v_cvt_f32_i32_e32 v113, v113                               // 0000000037F8: 7EE20B71
	v_cvt_f32_i32_e32 v114, v114                               // 0000000037FC: 7EE40B72
	v_cvt_f32_i32_e32 v115, v115                               // 000000003800: 7EE60B73
	v_cvt_f32_i32_e32 v116, v116                               // 000000003804: 7EE80B74
	v_cvt_f32_i32_e32 v117, v117                               // 000000003808: 7EEA0B75
	v_cvt_f32_i32_e32 v118, v118                               // 00000000380C: 7EEC0B76
	v_cvt_f32_i32_e32 v119, v119                               // 000000003810: 7EEE0B77
	v_cvt_f32_i32_e32 v120, v120                               // 000000003814: 7EF00B78
	v_cvt_f32_i32_e32 v121, v121                               // 000000003818: 7EF20B79
	v_cvt_f32_i32_e32 v122, v122                               // 00000000381C: 7EF40B7A
	v_cvt_f32_i32_e32 v123, v123                               // 000000003820: 7EF60B7B
	v_cvt_f32_i32_e32 v124, v124                               // 000000003824: 7EF80B7C
	v_cvt_f32_i32_e32 v125, v125                               // 000000003828: 7EFA0B7D
	v_cvt_f32_i32_e32 v126, v126                               // 00000000382C: 7EFC0B7E
	v_cvt_f32_i32_e32 v127, v127                               // 000000003830: 7EFE0B7F
	v_mul_f32_e32 v112, v18, v112                              // 000000003834: 0AE0E112
	v_mul_f32_e32 v113, v18, v113                              // 000000003838: 0AE2E312
	v_mul_f32_e32 v114, v18, v114                              // 00000000383C: 0AE4E512
	v_mul_f32_e32 v115, v18, v115                              // 000000003840: 0AE6E712
	v_mul_f32_e32 v116, v18, v116                              // 000000003844: 0AE8E912
	v_mul_f32_e32 v117, v18, v117                              // 000000003848: 0AEAEB12
	v_mul_f32_e32 v118, v18, v118                              // 00000000384C: 0AECED12
	v_mul_f32_e32 v119, v18, v119                              // 000000003850: 0AEEEF12
	v_mul_f32_e32 v120, v18, v120                              // 000000003854: 0AF0F112
	v_mul_f32_e32 v121, v18, v121                              // 000000003858: 0AF2F312
	v_mul_f32_e32 v122, v18, v122                              // 00000000385C: 0AF4F512
	v_mul_f32_e32 v123, v18, v123                              // 000000003860: 0AF6F712
	v_mul_f32_e32 v124, v18, v124                              // 000000003864: 0AF8F912
	v_mul_f32_e32 v125, v18, v125                              // 000000003868: 0AFAFB12
	v_mul_f32_e32 v126, v18, v126                              // 00000000386C: 0AFCFD12
	v_mul_f32_e32 v127, v18, v127                              // 000000003870: 0AFEFF12
	buffer_load_dwordx4 a[16:19], v24, s[16:19], 0 offen       // 000000003874: E05C1000 80841018
	v_mul_f32_dpp v112, v248, v112 quad_perm:[0,0,0,0] row_mask:0xf bank_mask:0xf// 00000000387C: 0AE0E0FA FF0000F8
	v_mul_f32_dpp v113, v248, v113 quad_perm:[1,1,1,1] row_mask:0xf bank_mask:0xf// 000000003884: 0AE2E2FA FF0055F8
	v_mul_f32_dpp v114, v248, v114 quad_perm:[2,2,2,2] row_mask:0xf bank_mask:0xf// 00000000388C: 0AE4E4FA FF00AAF8
	v_mul_f32_dpp v115, v248, v115 quad_perm:[3,3,3,3] row_mask:0xf bank_mask:0xf// 000000003894: 0AE6E6FA FF00FFF8
	v_mul_f32_dpp v116, v249, v116 quad_perm:[0,0,0,0] row_mask:0xf bank_mask:0xf// 00000000389C: 0AE8E8FA FF0000F9
	v_mul_f32_dpp v117, v249, v117 quad_perm:[1,1,1,1] row_mask:0xf bank_mask:0xf// 0000000038A4: 0AEAEAFA FF0055F9
	v_mul_f32_dpp v118, v249, v118 quad_perm:[2,2,2,2] row_mask:0xf bank_mask:0xf// 0000000038AC: 0AECECFA FF00AAF9
	v_mul_f32_dpp v119, v249, v119 quad_perm:[3,3,3,3] row_mask:0xf bank_mask:0xf// 0000000038B4: 0AEEEEFA FF00FFF9
	v_mul_f32_dpp v120, v250, v120 quad_perm:[0,0,0,0] row_mask:0xf bank_mask:0xf// 0000000038BC: 0AF0F0FA FF0000FA
	v_mul_f32_dpp v121, v250, v121 quad_perm:[1,1,1,1] row_mask:0xf bank_mask:0xf// 0000000038C4: 0AF2F2FA FF0055FA
	v_mul_f32_dpp v122, v250, v122 quad_perm:[2,2,2,2] row_mask:0xf bank_mask:0xf// 0000000038CC: 0AF4F4FA FF00AAFA
	v_mul_f32_dpp v123, v250, v123 quad_perm:[3,3,3,3] row_mask:0xf bank_mask:0xf// 0000000038D4: 0AF6F6FA FF00FFFA
	v_mul_f32_dpp v124, v251, v124 quad_perm:[0,0,0,0] row_mask:0xf bank_mask:0xf// 0000000038DC: 0AF8F8FA FF0000FB
	v_mul_f32_dpp v125, v251, v125 quad_perm:[1,1,1,1] row_mask:0xf bank_mask:0xf// 0000000038E4: 0AFAFAFA FF0055FB
	v_mul_f32_dpp v126, v251, v126 quad_perm:[2,2,2,2] row_mask:0xf bank_mask:0xf// 0000000038EC: 0AFCFCFA FF00AAFB
	v_mul_f32_dpp v127, v251, v127 quad_perm:[3,3,3,3] row_mask:0xf bank_mask:0xf// 0000000038F4: 0AFEFEFA FF00FFFB
	buffer_load_dwordx4 a[20:23], v24, s[16:19], 0 offen offset:1024// 0000000038FC: E05C1400 80841418
	s_cmp_le_i32 s90, s89                                      // 000000003904: BF05595A
	s_cbranch_scc1 label_0634                                  // 000000003908: BF850071
	v_mov_b32_e32 v66, 0xff800000                              // 00000000390C: 7E8402FF FF800000
	s_mov_b32 s60, s90                                         // 000000003914: BEBC005A
	s_add_u32 s61, s89, 0xff                                   // 000000003918: 803DFF59 000000FF
	v_mov_b32_e32 v64, s61                                     // 000000003920: 7E80023D
	v_lshrrev_b32_e32 v240, 4, v0                              // 000000003924: 21E00084
	v_mul_i32_i24_e32 v240, 4, v240                            // 000000003928: 0DE1E084
	v_add_u32_e32 v240, s60, v240                              // 00000000392C: 69E1E03C
	s_mov_b32 s61, 0                                           // 000000003930: BEBD0080
	s_mul_i32 s60, 16, s7                                      // 000000003934: 923C0790
	v_sub_u32_e64 v240, v240, s61                              // 000000003938: D13500F0 00007BF0
	v_add_u32_e32 v240, s60, v240                              // 000000003940: 69E1E03C
	v_add_u32_e32 v241, 1, v240                                // 000000003944: 69E3E081
	v_add_u32_e32 v242, 2, v240                                // 000000003948: 69E5E082
	v_add_u32_e32 v243, 3, v240                                // 00000000394C: 69E7E083
	v_cmp_le_u32_e64 s[40:41], v240, v64                       // 000000003950: D0CB0028 000281F0
	v_add_u32_e32 v240, 64, v240                               // 000000003958: 69E1E0C0
	s_nop 0                                                    // 00000000395C: BF800000
	v_cndmask_b32_e64 v112, v66, v112, s[40:41]                // 000000003960: D1000070 00A2E142
	v_cmp_le_u32_e64 s[40:41], v241, v64                       // 000000003968: D0CB0028 000281F1
	v_add_u32_e32 v241, 64, v241                               // 000000003970: 69E3E2C0
	s_nop 0                                                    // 000000003974: BF800000
	v_cndmask_b32_e64 v113, v66, v113, s[40:41]                // 000000003978: D1000071 00A2E342
	v_cmp_le_u32_e64 s[40:41], v242, v64                       // 000000003980: D0CB0028 000281F2
	v_add_u32_e32 v242, 64, v242                               // 000000003988: 69E5E4C0
	s_nop 0                                                    // 00000000398C: BF800000
	v_cndmask_b32_e64 v114, v66, v114, s[40:41]                // 000000003990: D1000072 00A2E542
	v_cmp_le_u32_e64 s[40:41], v243, v64                       // 000000003998: D0CB0028 000281F3
	v_add_u32_e32 v243, 64, v243                               // 0000000039A0: 69E7E6C0
	s_nop 0                                                    // 0000000039A4: BF800000
	v_cndmask_b32_e64 v115, v66, v115, s[40:41]                // 0000000039A8: D1000073 00A2E742
	v_cmp_le_u32_e64 s[40:41], v240, v64                       // 0000000039B0: D0CB0028 000281F0
	v_add_u32_e32 v240, 64, v240                               // 0000000039B8: 69E1E0C0
	s_nop 0                                                    // 0000000039BC: BF800000
	v_cndmask_b32_e64 v116, v66, v116, s[40:41]                // 0000000039C0: D1000074 00A2E942
	v_cmp_le_u32_e64 s[40:41], v241, v64                       // 0000000039C8: D0CB0028 000281F1
	v_add_u32_e32 v241, 64, v241                               // 0000000039D0: 69E3E2C0
	s_nop 0                                                    // 0000000039D4: BF800000
	v_cndmask_b32_e64 v117, v66, v117, s[40:41]                // 0000000039D8: D1000075 00A2EB42
	v_cmp_le_u32_e64 s[40:41], v242, v64                       // 0000000039E0: D0CB0028 000281F2
	v_add_u32_e32 v242, 64, v242                               // 0000000039E8: 69E5E4C0
	s_nop 0                                                    // 0000000039EC: BF800000
	v_cndmask_b32_e64 v118, v66, v118, s[40:41]                // 0000000039F0: D1000076 00A2ED42
	v_cmp_le_u32_e64 s[40:41], v243, v64                       // 0000000039F8: D0CB0028 000281F3
	v_add_u32_e32 v243, 64, v243                               // 000000003A00: 69E7E6C0
	s_nop 0                                                    // 000000003A04: BF800000
	v_cndmask_b32_e64 v119, v66, v119, s[40:41]                // 000000003A08: D1000077 00A2EF42
	v_cmp_le_u32_e64 s[40:41], v240, v64                       // 000000003A10: D0CB0028 000281F0
	v_add_u32_e32 v240, 64, v240                               // 000000003A18: 69E1E0C0
	s_nop 0                                                    // 000000003A1C: BF800000
	v_cndmask_b32_e64 v120, v66, v120, s[40:41]                // 000000003A20: D1000078 00A2F142
	v_cmp_le_u32_e64 s[40:41], v241, v64                       // 000000003A28: D0CB0028 000281F1
	v_add_u32_e32 v241, 64, v241                               // 000000003A30: 69E3E2C0
	s_nop 0                                                    // 000000003A34: BF800000
	v_cndmask_b32_e64 v121, v66, v121, s[40:41]                // 000000003A38: D1000079 00A2F342
	v_cmp_le_u32_e64 s[40:41], v242, v64                       // 000000003A40: D0CB0028 000281F2
	v_add_u32_e32 v242, 64, v242                               // 000000003A48: 69E5E4C0
	s_nop 0                                                    // 000000003A4C: BF800000
	v_cndmask_b32_e64 v122, v66, v122, s[40:41]                // 000000003A50: D100007A 00A2F542
	v_cmp_le_u32_e64 s[40:41], v243, v64                       // 000000003A58: D0CB0028 000281F3
	v_add_u32_e32 v243, 64, v243                               // 000000003A60: 69E7E6C0
	s_nop 0                                                    // 000000003A64: BF800000
	v_cndmask_b32_e64 v123, v66, v123, s[40:41]                // 000000003A68: D100007B 00A2F742
	v_cmp_le_u32_e64 s[40:41], v240, v64                       // 000000003A70: D0CB0028 000281F0
	v_add_u32_e32 v240, 64, v240                               // 000000003A78: 69E1E0C0
	s_nop 0                                                    // 000000003A7C: BF800000
	v_cndmask_b32_e64 v124, v66, v124, s[40:41]                // 000000003A80: D100007C 00A2F942
	v_cmp_le_u32_e64 s[40:41], v241, v64                       // 000000003A88: D0CB0028 000281F1
	v_add_u32_e32 v241, 64, v241                               // 000000003A90: 69E3E2C0
	s_nop 0                                                    // 000000003A94: BF800000
	v_cndmask_b32_e64 v125, v66, v125, s[40:41]                // 000000003A98: D100007D 00A2FB42
	v_cmp_le_u32_e64 s[40:41], v242, v64                       // 000000003AA0: D0CB0028 000281F2
	v_add_u32_e32 v242, 64, v242                               // 000000003AA8: 69E5E4C0
	s_nop 0                                                    // 000000003AAC: BF800000
	v_cndmask_b32_e64 v126, v66, v126, s[40:41]                // 000000003AB0: D100007E 00A2FD42
	v_cmp_le_u32_e64 s[40:41], v243, v64                       // 000000003AB8: D0CB0028 000281F3
	v_add_u32_e32 v243, 64, v243                               // 000000003AC0: 69E7E6C0
	s_nop 0                                                    // 000000003AC4: BF800000
	v_cndmask_b32_e64 v127, v66, v127, s[40:41]                // 000000003AC8: D100007F 00A2FF42

0000000000003ad0 <label_0634>:
	s_add_u32 s90, s91, s90                                    // 000000003AD0: 805A5A5B
	v_mov_b32_e32 v48, v112                                    // 000000003AD4: 7E600370
	v_max3_f32 v48, v112, v113, v48                            // 000000003AD8: D1D30030 04C2E370
	v_max3_f32 v48, v114, v115, v48                            // 000000003AE0: D1D30030 04C2E772
	v_max3_f32 v48, v116, v117, v48                            // 000000003AE8: D1D30030 04C2EB74
	v_max3_f32 v48, v118, v119, v48                            // 000000003AF0: D1D30030 04C2EF76
	v_max3_f32 v48, v120, v121, v48                            // 000000003AF8: D1D30030 04C2F378
	v_max3_f32 v48, v122, v123, v48                            // 000000003B00: D1D30030 04C2F77A
	v_max3_f32 v48, v124, v125, v48                            // 000000003B08: D1D30030 04C2FB7C
	v_max3_f32 v48, v126, v127, v48                            // 000000003B10: D1D30030 04C2FF7E
	ds_write_b32 v8, v48 offset:16896                          // 000000003B18: D81A4200 00003008
	buffer_load_dwordx4 a[24:27], v25, s[16:19], 0 offen       // 000000003B20: E05C1000 80841819
	v_mul_u32_u24_dpp v64, v16, v54 row_newbcast:1 row_mask:0xf bank_mask:0xf// 000000003B28: 10806CFA FF015110
	v_mul_u32_u24_dpp v65, v16, v54 row_newbcast:5 row_mask:0xf bank_mask:0xf// 000000003B30: 10826CFA FF015510
	v_mul_u32_u24_dpp v66, v16, v54 row_newbcast:9 row_mask:0xf bank_mask:0xf// 000000003B38: 10846CFA FF015910
	v_mul_u32_u24_dpp v67, v16, v54 row_newbcast:13 row_mask:0xf bank_mask:0xf// 000000003B40: 10866CFA FF015D10
	v_add_u32_e32 v30, v64, v6                                 // 000000003B48: 683C0D40
	v_add_u32_e32 v31, v65, v6                                 // 000000003B4C: 683E0D41
	v_add_u32_e32 v32, v66, v6                                 // 000000003B50: 68400D42
	v_add_u32_e32 v33, v67, v6                                 // 000000003B54: 68420D43
	v_mul_f32_e32 v208, v49, v208                              // 000000003B58: 0BA1A131
	v_mul_f32_e32 v209, v49, v209                              // 000000003B5C: 0BA3A331
	v_mul_f32_e32 v210, v49, v210                              // 000000003B60: 0BA5A531
	v_mul_f32_e32 v211, v49, v211                              // 000000003B64: 0BA7A731
	v_mul_f32_e32 v212, v49, v212                              // 000000003B68: 0BA9A931
	v_mul_f32_e32 v213, v49, v213                              // 000000003B6C: 0BABAB31
	v_mul_f32_e32 v214, v49, v214                              // 000000003B70: 0BADAD31
	v_mul_f32_e32 v215, v49, v215                              // 000000003B74: 0BAFAF31
	s_waitcnt lgkmcnt(0)                                       // 000000003B78: BF8CC07F
	s_barrier                                                  // 000000003B7C: BF8A0000
	ds_read_b32 v64, v7 offset:16896                           // 000000003B80: D86C4200 40000007
	ds_read_b32 v65, v7 offset:16960                           // 000000003B88: D86C4240 41000007
	ds_read_b32 v66, v7 offset:17024                           // 000000003B90: D86C4280 42000007
	ds_read_b32 v67, v7 offset:17088                           // 000000003B98: D86C42C0 43000007
	ds_read_b32 v68, v7 offset:17152                           // 000000003BA0: D86C4300 44000007
	ds_read_b32 v69, v7 offset:17216                           // 000000003BA8: D86C4340 45000007
	ds_read_b32 v70, v7 offset:17280                           // 000000003BB0: D86C4380 46000007
	ds_read_b32 v71, v7 offset:17344                           // 000000003BB8: D86C43C0 47000007
	ds_read_b32 v72, v7 offset:17408                           // 000000003BC0: D86C4400 48000007
	ds_read_b32 v73, v7 offset:17472                           // 000000003BC8: D86C4440 49000007
	ds_read_b32 v74, v7 offset:17536                           // 000000003BD0: D86C4480 4A000007
	ds_read_b32 v75, v7 offset:17600                           // 000000003BD8: D86C44C0 4B000007
	ds_read_b32 v76, v7 offset:17664                           // 000000003BE0: D86C4500 4C000007
	ds_read_b32 v77, v7 offset:17728                           // 000000003BE8: D86C4540 4D000007
	ds_read_b32 v78, v7 offset:17792                           // 000000003BF0: D86C4580 4E000007
	ds_read_b32 v79, v7 offset:17856                           // 000000003BF8: D86C45C0 4F000007
	buffer_load_dwordx4 a[28:31], v25, s[16:19], 0 offen offset:1024// 000000003C00: E05C1400 80841C19
	v_cvt_f32_i32_e32 v176, v176                               // 000000003C08: 7F600BB0
	v_cvt_f32_i32_e32 v177, v177                               // 000000003C0C: 7F620BB1
	v_cvt_f32_i32_e32 v178, v178                               // 000000003C10: 7F640BB2
	v_cvt_f32_i32_e32 v179, v179                               // 000000003C14: 7F660BB3
	v_cvt_f32_i32_e32 v180, v180                               // 000000003C18: 7F680BB4
	v_cvt_f32_i32_e32 v181, v181                               // 000000003C1C: 7F6A0BB5
	v_cvt_f32_i32_e32 v182, v182                               // 000000003C20: 7F6C0BB6
	v_cvt_f32_i32_e32 v183, v183                               // 000000003C24: 7F6E0BB7
	v_mul_f32_e32 v176, v44, v176                              // 000000003C28: 0B61612C
	v_mul_f32_e32 v177, v44, v177                              // 000000003C2C: 0B63632C
	v_mul_f32_e32 v178, v44, v178                              // 000000003C30: 0B65652C
	v_mul_f32_e32 v179, v44, v179                              // 000000003C34: 0B67672C
	v_mul_f32_e32 v180, v44, v180                              // 000000003C38: 0B69692C
	v_mul_f32_e32 v181, v44, v181                              // 000000003C3C: 0B6B6B2C
	v_mul_f32_e32 v182, v44, v182                              // 000000003C40: 0B6D6D2C
	v_mul_f32_e32 v183, v44, v183                              // 000000003C44: 0B6F6F2C
	s_waitcnt lgkmcnt(0)                                       // 000000003C48: BF8CC07F
	v_max3_f32 v48, v64, v65, v48                              // 000000003C4C: D1D30030 04C28340
	v_max3_f32 v48, v66, v67, v48                              // 000000003C54: D1D30030 04C28742
	v_max3_f32 v48, v68, v69, v48                              // 000000003C5C: D1D30030 04C28B44
	v_max3_f32 v48, v70, v71, v48                              // 000000003C64: D1D30030 04C28F46
	v_max3_f32 v48, v72, v73, v48                              // 000000003C6C: D1D30030 04C29348
	v_max3_f32 v48, v74, v75, v48                              // 000000003C74: D1D30030 04C2974A
	v_max3_f32 v48, v76, v77, v48                              // 000000003C7C: D1D30030 04C29B4C
	v_max3_f32 v48, v78, v79, v48                              // 000000003C84: D1D30030 04C29F4E
	buffer_load_dwordx4 a[64:67], v30, s[20:23], 0 offen       // 000000003C8C: E05C1000 8085401E
	v_mov_b32_e32 v64, 0xff800000                              // 000000003C94: 7E8002FF FF800000
	v_cmp_eq_u32_e64 s[40:41], v64, v11                        // 000000003C9C: D0CA0028 00021740
	s_nop 1                                                    // 000000003CA4: BF800001
	v_max_f32_e32 v15, v48, v11                                // 000000003CA8: 161E1730
	v_mul_f32_e32 v53, s64, v15                                // 000000003CAC: 0A6A1E40
	v_fma_f32 v112, v112, s64, -v53                            // 000000003CB0: D1CB0070 84D48170
	v_fma_f32 v113, v113, s64, -v53                            // 000000003CB8: D1CB0071 84D48171
	v_fma_f32 v114, v114, s64, -v53                            // 000000003CC0: D1CB0072 84D48172
	v_fma_f32 v115, v115, s64, -v53                            // 000000003CC8: D1CB0073 84D48173
	v_fma_f32 v116, v116, s64, -v53                            // 000000003CD0: D1CB0074 84D48174
	v_fma_f32 v117, v117, s64, -v53                            // 000000003CD8: D1CB0075 84D48175
	v_fma_f32 v118, v118, s64, -v53                            // 000000003CE0: D1CB0076 84D48176
	v_fma_f32 v119, v119, s64, -v53                            // 000000003CE8: D1CB0077 84D48177
	v_fma_f32 v120, v120, s64, -v53                            // 000000003CF0: D1CB0078 84D48178
	v_fma_f32 v121, v121, s64, -v53                            // 000000003CF8: D1CB0079 84D48179
	v_fma_f32 v122, v122, s64, -v53                            // 000000003D00: D1CB007A 84D4817A
	v_fma_f32 v123, v123, s64, -v53                            // 000000003D08: D1CB007B 84D4817B
	v_fma_f32 v124, v124, s64, -v53                            // 000000003D10: D1CB007C 84D4817C
	v_fma_f32 v125, v125, s64, -v53                            // 000000003D18: D1CB007D 84D4817D
	v_fma_f32 v126, v126, s64, -v53                            // 000000003D20: D1CB007E 84D4817E
	v_fma_f32 v127, v127, s64, -v53                            // 000000003D28: D1CB007F 84D4817F
	buffer_load_dwordx4 a[68:71], v31, s[20:23], 0 offen       // 000000003D30: E05C1000 8085441F
	v_exp_f32_e32 v112, v112                                   // 000000003D38: 7EE04170
	v_exp_f32_e32 v113, v113                                   // 000000003D3C: 7EE24171
	v_exp_f32_e32 v114, v114                                   // 000000003D40: 7EE44172
	v_exp_f32_e32 v115, v115                                   // 000000003D44: 7EE64173
	v_exp_f32_e32 v116, v116                                   // 000000003D48: 7EE84174
	v_exp_f32_e32 v117, v117                                   // 000000003D4C: 7EEA4175
	v_exp_f32_e32 v118, v118                                   // 000000003D50: 7EEC4176
	v_exp_f32_e32 v119, v119                                   // 000000003D54: 7EEE4177
	v_exp_f32_e32 v120, v120                                   // 000000003D58: 7EF04178
	v_exp_f32_e32 v121, v121                                   // 000000003D5C: 7EF24179
	v_exp_f32_e32 v122, v122                                   // 000000003D60: 7EF4417A
	v_exp_f32_e32 v123, v123                                   // 000000003D64: 7EF6417B
	v_exp_f32_e32 v124, v124                                   // 000000003D68: 7EF8417C
	v_exp_f32_e32 v125, v125                                   // 000000003D6C: 7EFA417D
	v_exp_f32_e32 v126, v126                                   // 000000003D70: 7EFC417E
	v_exp_f32_e32 v127, v127                                   // 000000003D74: 7EFE417F
	buffer_load_dwordx4 a[72:75], v32, s[20:23], 0 offen       // 000000003D78: E05C1000 80854820
	v_mul_f32_dpp v240, v252, v112 quad_perm:[0,0,0,0] row_mask:0xf bank_mask:0xf// 000000003D80: 0BE0E0FA FF0000FC
	v_mul_f32_dpp v241, v252, v113 quad_perm:[1,1,1,1] row_mask:0xf bank_mask:0xf// 000000003D88: 0BE2E2FA FF0055FC
	v_mul_f32_dpp v242, v252, v114 quad_perm:[2,2,2,2] row_mask:0xf bank_mask:0xf// 000000003D90: 0BE4E4FA FF00AAFC
	v_mul_f32_dpp v243, v252, v115 quad_perm:[3,3,3,3] row_mask:0xf bank_mask:0xf// 000000003D98: 0BE6E6FA FF00FFFC
	v_mul_f32_dpp v244, v253, v116 quad_perm:[0,0,0,0] row_mask:0xf bank_mask:0xf// 000000003DA0: 0BE8E8FA FF0000FD
	v_mul_f32_dpp v245, v253, v117 quad_perm:[1,1,1,1] row_mask:0xf bank_mask:0xf// 000000003DA8: 0BEAEAFA FF0055FD
	v_mul_f32_dpp v246, v253, v118 quad_perm:[2,2,2,2] row_mask:0xf bank_mask:0xf// 000000003DB0: 0BECECFA FF00AAFD
	v_mul_f32_dpp v247, v253, v119 quad_perm:[3,3,3,3] row_mask:0xf bank_mask:0xf// 000000003DB8: 0BEEEEFA FF00FFFD
	v_mul_f32_dpp v248, v254, v120 quad_perm:[0,0,0,0] row_mask:0xf bank_mask:0xf// 000000003DC0: 0BF0F0FA FF0000FE
	v_mul_f32_dpp v249, v254, v121 quad_perm:[1,1,1,1] row_mask:0xf bank_mask:0xf// 000000003DC8: 0BF2F2FA FF0055FE
	v_mul_f32_dpp v250, v254, v122 quad_perm:[2,2,2,2] row_mask:0xf bank_mask:0xf// 000000003DD0: 0BF4F4FA FF00AAFE
	v_mul_f32_dpp v251, v254, v123 quad_perm:[3,3,3,3] row_mask:0xf bank_mask:0xf// 000000003DD8: 0BF6F6FA FF00FFFE
	v_mul_f32_dpp v252, v255, v124 quad_perm:[0,0,0,0] row_mask:0xf bank_mask:0xf// 000000003DE0: 0BF8F8FA FF0000FF
	v_mul_f32_dpp v253, v255, v125 quad_perm:[1,1,1,1] row_mask:0xf bank_mask:0xf// 000000003DE8: 0BFAFAFA FF0055FF
	v_mul_f32_dpp v254, v255, v126 quad_perm:[2,2,2,2] row_mask:0xf bank_mask:0xf// 000000003DF0: 0BFCFCFA FF00AAFF
	v_mul_f32_dpp v255, v255, v127 quad_perm:[3,3,3,3] row_mask:0xf bank_mask:0xf// 000000003DF8: 0BFEFEFA FF00FFFF
	v_mov_b32_e32 v48, 0x358637bd                              // 000000003E00: 7E6002FF 358637BD
	v_max3_f32 v48, |v240|, |v241|, v48                        // 000000003E08: D1D30330 04C3E3F0
	v_max3_f32 v48, |v242|, |v243|, v48                        // 000000003E10: D1D30330 04C3E7F2
	v_max3_f32 v48, |v244|, |v245|, v48                        // 000000003E18: D1D30330 04C3EBF4
	v_max3_f32 v48, |v246|, |v247|, v48                        // 000000003E20: D1D30330 04C3EFF6
	v_max3_f32 v48, |v248|, |v249|, v48                        // 000000003E28: D1D30330 04C3F3F8
	v_max3_f32 v48, |v250|, |v251|, v48                        // 000000003E30: D1D30330 04C3F7FA
	v_max3_f32 v48, |v252|, |v253|, v48                        // 000000003E38: D1D30330 04C3FBFC
	v_max3_f32 v48, |v254|, |v255|, v48                        // 000000003E40: D1D30330 04C3FFFE
	buffer_load_dwordx4 a[76:79], v33, s[20:23], 0 offen       // 000000003E48: E05C1000 80854C21
	ds_write_b32 v8, v48 offset:20992                          // 000000003E50: D81A5200 00003008
	v_sub_f32_e32 v49, v11, v15                                // 000000003E58: 04621F0B
	v_cndmask_b32_e64 v49, v49, 0, s[40:41]                    // 000000003E5C: D1000031 00A10131
	v_mov_b32_e32 v11, v15                                     // 000000003E64: 7E16030F
	v_mul_f32_e32 v49, s64, v49                                // 000000003E68: 0A626240
	v_exp_f32_e32 v49, v49                                     // 000000003E6C: 7E624131
	s_waitcnt lgkmcnt(0)                                       // 000000003E70: BF8CC07F
	s_barrier                                                  // 000000003E74: BF8A0000
	ds_read_b32 v64, v7 offset:20992                           // 000000003E78: D86C5200 40000007
	ds_read_b32 v65, v7 offset:21056                           // 000000003E80: D86C5240 41000007
	ds_read_b32 v66, v7 offset:21120                           // 000000003E88: D86C5280 42000007
	ds_read_b32 v67, v7 offset:21184                           // 000000003E90: D86C52C0 43000007
	ds_read_b32 v68, v7 offset:21248                           // 000000003E98: D86C5300 44000007
	ds_read_b32 v69, v7 offset:21312                           // 000000003EA0: D86C5340 45000007
	ds_read_b32 v70, v7 offset:21376                           // 000000003EA8: D86C5380 46000007
	ds_read_b32 v71, v7 offset:21440                           // 000000003EB0: D86C53C0 47000007
	ds_read_b32 v72, v7 offset:21504                           // 000000003EB8: D86C5400 48000007
	ds_read_b32 v73, v7 offset:21568                           // 000000003EC0: D86C5440 49000007
	ds_read_b32 v74, v7 offset:21632                           // 000000003EC8: D86C5480 4A000007
	ds_read_b32 v75, v7 offset:21696                           // 000000003ED0: D86C54C0 4B000007
	ds_read_b32 v76, v7 offset:21760                           // 000000003ED8: D86C5500 4C000007
	ds_read_b32 v77, v7 offset:21824                           // 000000003EE0: D86C5540 4D000007
	ds_read_b32 v78, v7 offset:21888                           // 000000003EE8: D86C5580 4E000007
	ds_read_b32 v79, v7 offset:21952                           // 000000003EF0: D86C55C0 4F000007
	v_mul_f32_e32 v38, v49, v38                                // 000000003EF8: 0A4C4D31
	v_mov_b32_e32 v15, v112                                    // 000000003EFC: 7E1E0370
	v_add_f32_e32 v15, v113, v15                               // 000000003F00: 021E1F71
	v_add_f32_e32 v15, v114, v15                               // 000000003F04: 021E1F72
	v_add_f32_e32 v15, v115, v15                               // 000000003F08: 021E1F73
	v_add_f32_e32 v15, v116, v15                               // 000000003F0C: 021E1F74
	v_add_f32_e32 v15, v117, v15                               // 000000003F10: 021E1F75
	v_add_f32_e32 v15, v118, v15                               // 000000003F14: 021E1F76
	v_add_f32_e32 v15, v119, v15                               // 000000003F18: 021E1F77
	v_add_f32_e32 v15, v120, v15                               // 000000003F1C: 021E1F78
	v_add_f32_e32 v15, v121, v15                               // 000000003F20: 021E1F79
	v_add_f32_e32 v15, v122, v15                               // 000000003F24: 021E1F7A
	v_add_f32_e32 v15, v123, v15                               // 000000003F28: 021E1F7B
	v_add_f32_e32 v15, v124, v15                               // 000000003F2C: 021E1F7C
	v_add_f32_e32 v15, v125, v15                               // 000000003F30: 021E1F7D
	v_add_f32_e32 v15, v126, v15                               // 000000003F34: 021E1F7E
	v_add_f32_e32 v15, v127, v15                               // 000000003F38: 021E1F7F
	v_add_f32_e32 v38, v15, v38                                // 000000003F3C: 024C4D0F
	s_waitcnt lgkmcnt(0)                                       // 000000003F40: BF8CC07F
	v_max3_f32 v48, |v64|, |v65|, v48                          // 000000003F44: D1D30330 04C28340
	v_max3_f32 v48, |v66|, |v67|, v48                          // 000000003F4C: D1D30330 04C28742
	v_max3_f32 v48, |v68|, |v69|, v48                          // 000000003F54: D1D30330 04C28B44
	v_max3_f32 v48, |v70|, |v71|, v48                          // 000000003F5C: D1D30330 04C28F46
	v_max3_f32 v48, |v72|, |v73|, v48                          // 000000003F64: D1D30330 04C29348
	v_max3_f32 v48, |v74|, |v75|, v48                          // 000000003F6C: D1D30330 04C2974A
	v_max3_f32 v48, |v76|, |v77|, v48                          // 000000003F74: D1D30330 04C29B4C
	v_max3_f32 v48, |v78|, |v79|, v48                          // 000000003F7C: D1D30330 04C29F4E
	s_nop 2                                                    // 000000003F84: BF800002
	v_rcp_f32_e32 v48, v48                                     // 000000003F88: 7E604530
	s_nop 1                                                    // 000000003F8C: BF800001
	v_mul_f32_e32 v48, 0x42fe0000, v48                         // 000000003F90: 0A6060FF 42FE0000
	v_mul_f32_e32 v112, v48, v240                              // 000000003F98: 0AE1E130
	v_mul_f32_e32 v113, v48, v241                              // 000000003F9C: 0AE3E330
	v_mul_f32_e32 v114, v48, v242                              // 000000003FA0: 0AE5E530
	v_mul_f32_e32 v115, v48, v243                              // 000000003FA4: 0AE7E730
	v_mul_f32_e32 v116, v48, v244                              // 000000003FA8: 0AE9E930
	v_mul_f32_e32 v117, v48, v245                              // 000000003FAC: 0AEBEB30
	v_mul_f32_e32 v118, v48, v246                              // 000000003FB0: 0AEDED30
	v_mul_f32_e32 v119, v48, v247                              // 000000003FB4: 0AEFEF30
	v_mul_f32_e32 v120, v48, v248                              // 000000003FB8: 0AF1F130
	v_mul_f32_e32 v121, v48, v249                              // 000000003FBC: 0AF3F330
	v_mul_f32_e32 v122, v48, v250                              // 000000003FC0: 0AF5F530
	v_mul_f32_e32 v123, v48, v251                              // 000000003FC4: 0AF7F730
	v_mul_f32_e32 v124, v48, v252                              // 000000003FC8: 0AF9F930
	v_mul_f32_e32 v125, v48, v253                              // 000000003FCC: 0AFBFB30
	v_mul_f32_e32 v126, v48, v254                              // 000000003FD0: 0AFDFD30
	v_mul_f32_e32 v127, v48, v255                              // 000000003FD4: 0AFFFF30
	v_cvt_i32_f32_e32 v112, v112                               // 000000003FD8: 7EE01170
	v_cvt_i32_f32_e32 v113, v113                               // 000000003FDC: 7EE21171
	v_cvt_i32_f32_e32 v114, v114                               // 000000003FE0: 7EE41172
	v_cvt_i32_f32_e32 v115, v115                               // 000000003FE4: 7EE61173
	v_cvt_i32_f32_e32 v116, v116                               // 000000003FE8: 7EE81174
	v_cvt_i32_f32_e32 v117, v117                               // 000000003FEC: 7EEA1175
	v_cvt_i32_f32_e32 v118, v118                               // 000000003FF0: 7EEC1176
	v_cvt_i32_f32_e32 v119, v119                               // 000000003FF4: 7EEE1177
	v_cvt_i32_f32_e32 v120, v120                               // 000000003FF8: 7EF01178
	v_cvt_i32_f32_e32 v121, v121                               // 000000003FFC: 7EF21179
	v_cvt_i32_f32_e32 v122, v122                               // 000000004000: 7EF4117A
	v_cvt_i32_f32_e32 v123, v123                               // 000000004004: 7EF6117B
	v_cvt_i32_f32_e32 v124, v124                               // 000000004008: 7EF8117C
	v_cvt_i32_f32_e32 v125, v125                               // 00000000400C: 7EFA117D
	v_cvt_i32_f32_e32 v126, v126                               // 000000004010: 7EFC117E
	v_cvt_i32_f32_e32 v127, v127                               // 000000004014: 7EFE117F
	v_perm_b32 v112, v113, v112, s53                           // 000000004018: D1ED0070 00D6E171
	v_perm_b32 v112, v114, v112, s54                           // 000000004020: D1ED0070 00DAE172
	v_perm_b32 v112, v115, v112, s55                           // 000000004028: D1ED0070 00DEE173
	v_perm_b32 v113, v117, v116, s53                           // 000000004030: D1ED0071 00D6E975
	v_perm_b32 v113, v118, v113, s54                           // 000000004038: D1ED0071 00DAE376
	v_perm_b32 v113, v119, v113, s55                           // 000000004040: D1ED0071 00DEE377
	v_perm_b32 v114, v121, v120, s53                           // 000000004048: D1ED0072 00D6F179
	v_perm_b32 v114, v122, v114, s54                           // 000000004050: D1ED0072 00DAE57A
	v_perm_b32 v114, v123, v114, s55                           // 000000004058: D1ED0072 00DEE57B
	v_perm_b32 v115, v125, v124, s53                           // 000000004060: D1ED0073 00D6F97D
	v_perm_b32 v115, v126, v115, s54                           // 000000004068: D1ED0073 00DAE77E
	v_perm_b32 v115, v127, v115, s55                           // 000000004070: D1ED0073 00DEE77F
	ds_write_b32 v10, v112 offset:25088                        // 000000004078: D81A6200 0000700A
	ds_write_b32 v10, v113 offset:26112                        // 000000004080: D81A6600 0000710A
	ds_write_b32 v10, v114 offset:27136                        // 000000004088: D81A6A00 0000720A
	ds_write_b32 v10, v115 offset:28160                        // 000000004090: D81A6E00 0000730A
	v_add_f32_e32 v208, v208, v176                             // 000000004098: 03A161D0
	v_add_f32_e32 v209, v209, v177                             // 00000000409C: 03A363D1
	v_add_f32_e32 v210, v210, v178                             // 0000000040A0: 03A565D2
	v_add_f32_e32 v211, v211, v179                             // 0000000040A4: 03A767D3
	v_add_f32_e32 v212, v212, v180                             // 0000000040A8: 03A969D4
	v_add_f32_e32 v213, v213, v181                             // 0000000040AC: 03AB6BD5
	v_add_f32_e32 v214, v214, v182                             // 0000000040B0: 03AD6DD6
	v_add_f32_e32 v215, v215, v183                             // 0000000040B4: 03AF6FD7
	v_rcp_f32_e32 v44, v48                                     // 0000000040B8: 7E584530
	s_waitcnt lgkmcnt(0)                                       // 0000000040BC: BF8CC07F
	s_barrier                                                  // 0000000040C0: BF8A0000
	ds_read_b64 v[112:113], v9 offset:25088                    // 0000000040C4: D8EC6200 70000009
	ds_read_b64 v[114:115], v9 offset:25216                    // 0000000040CC: D8EC6280 72000009
	ds_read_b64 v[116:117], v9 offset:26112                    // 0000000040D4: D8EC6600 74000009
	ds_read_b64 v[118:119], v9 offset:26240                    // 0000000040DC: D8EC6680 76000009
	ds_read_b64 v[120:121], v9 offset:27136                    // 0000000040E4: D8EC6A00 78000009
	ds_read_b64 v[122:123], v9 offset:27264                    // 0000000040EC: D8EC6A80 7A000009
	ds_read_b64 v[124:125], v9 offset:28160                    // 0000000040F4: D8EC6E00 7C000009
	ds_read_b64 v[126:127], v9 offset:28288                    // 0000000040FC: D8EC6E80 7E000009
	s_waitcnt vmcnt(15)                                        // 000000004104: BF8C0F7F
	s_waitcnt lgkmcnt(7)                                       // 000000004108: BF8CC77F
	v_mfma_i32_16x16x32_i8 v[176:179], a[96:97], v[112:113], 0 // 00000000410C: D3D700B0 0A02E160
	s_waitcnt lgkmcnt(6)                                       // 000000004114: BF8CC67F
	v_mfma_i32_16x16x32_i8 v[176:179], a[98:99], v[114:115], v[176:179]// 000000004118: D3D700B0 0EC2E562
	buffer_load_dwordx4 a[80:83], v30, s[20:23], 0 offen offset:1024// 000000004120: E05C1400 8085501E
	s_waitcnt lgkmcnt(5)                                       // 000000004128: BF8CC57F
	v_mfma_i32_16x16x32_i8 v[176:179], a[100:101], v[116:117], v[176:179]// 00000000412C: D3D700B0 0EC2E964
	s_waitcnt lgkmcnt(4)                                       // 000000004134: BF8CC47F
	v_mfma_i32_16x16x32_i8 v[176:179], a[102:103], v[118:119], v[176:179]// 000000004138: D3D700B0 0EC2ED66
	s_waitcnt lgkmcnt(3)                                       // 000000004140: BF8CC37F
	v_mfma_i32_16x16x32_i8 v[176:179], a[104:105], v[120:121], v[176:179]// 000000004144: D3D700B0 0EC2F168
	s_waitcnt lgkmcnt(2)                                       // 00000000414C: BF8CC27F
	v_mfma_i32_16x16x32_i8 v[176:179], a[106:107], v[122:123], v[176:179]// 000000004150: D3D700B0 0EC2F56A
	buffer_load_dwordx4 a[84:87], v31, s[20:23], 0 offen offset:1024// 000000004158: E05C1400 8085541F
	s_waitcnt lgkmcnt(1)                                       // 000000004160: BF8CC17F
	v_mfma_i32_16x16x32_i8 v[176:179], a[108:109], v[124:125], v[176:179]// 000000004164: D3D700B0 0EC2F96C
	s_waitcnt lgkmcnt(0)                                       // 00000000416C: BF8CC07F
	v_mfma_i32_16x16x32_i8 v[176:179], a[110:111], v[126:127], v[176:179]// 000000004170: D3D700B0 0EC2FD6E
	v_mfma_i32_16x16x32_i8 v[180:183], a[112:113], v[112:113], 0// 000000004178: D3D700B4 0A02E170
	v_mfma_i32_16x16x32_i8 v[180:183], a[114:115], v[114:115], v[180:183]// 000000004180: D3D700B4 0ED2E572
	buffer_load_dwordx4 a[88:91], v32, s[20:23], 0 offen offset:1024// 000000004188: E05C1400 80855820
	v_mfma_i32_16x16x32_i8 v[180:183], a[116:117], v[116:117], v[180:183]// 000000004190: D3D700B4 0ED2E974
	v_mfma_i32_16x16x32_i8 v[180:183], a[118:119], v[118:119], v[180:183]// 000000004198: D3D700B4 0ED2ED76
	v_mfma_i32_16x16x32_i8 v[180:183], a[120:121], v[120:121], v[180:183]// 0000000041A0: D3D700B4 0ED2F178
	v_mfma_i32_16x16x32_i8 v[180:183], a[122:123], v[122:123], v[180:183]// 0000000041A8: D3D700B4 0ED2F57A
	buffer_load_dwordx4 a[92:95], v33, s[20:23], 0 offen offset:1024// 0000000041B0: E05C1400 80855C21
	v_mfma_i32_16x16x32_i8 v[180:183], a[124:125], v[124:125], v[180:183]// 0000000041B8: D3D700B4 0ED2F97C
	s_lshr_b32 s57, s70, 4                                     // 0000000041C0: 8F398446
	s_add_u32 s57, 48, s57                                     // 0000000041C4: 803939B0
	v_mfma_i32_16x16x32_i8 v[180:183], a[126:127], v[126:127], v[180:183]// 0000000041C8: D3D700B4 0ED2FD7E
	s_cmp_ge_u32 s57, s73                                      // 0000000041D0: BF094939
	s_cselect_b32 s56, 0, s56                                  // 0000000041D4: 85383880
	v_add_u32_e32 v1, s56, v1                                  // 0000000041D8: 68020238
	s_addk_i32 s70, 0x100                                      // 0000000041DC: B7460100
	s_cmp_lt_i32 s70, s71                                      // 0000000041E0: BF044746
	s_cbranch_scc0 label_07FB                                  // 0000000041E4: BF840001
	s_branch label_0216                                        // 0000000041E8: BF82FA1B

00000000000041ec <label_07FB>:
	s_nop 0                                                    // 0000000041EC: BF800000
	s_nop 0                                                    // 0000000041F0: BF800000
	s_branch label_0DE3                                        // 0000000041F4: BF8205E5

00000000000041f8 <label_07FE>:
	s_waitcnt vmcnt(8) lgkmcnt(0)                              // 0000000041F8: BF8C0078
	v_mul_u32_u24_dpp v64, v17, v54 row_newbcast:0 row_mask:0xf bank_mask:0xf// 0000000041FC: 10806CFA FF015011
	v_mul_u32_u24_dpp v65, v17, v54 row_newbcast:4 row_mask:0xf bank_mask:0xf// 000000004204: 10826CFA FF015411
	v_mul_u32_u24_dpp v66, v17, v54 row_newbcast:8 row_mask:0xf bank_mask:0xf// 00000000420C: 10846CFA FF015811
	v_mul_u32_u24_dpp v67, v17, v54 row_newbcast:12 row_mask:0xf bank_mask:0xf// 000000004214: 10866CFA FF015C11
	v_add_u32_e32 v26, v64, v5                                 // 00000000421C: 68340B40
	v_add_u32_e32 v27, v65, v5                                 // 000000004220: 68360B41
	v_add_u32_e32 v28, v66, v5                                 // 000000004224: 68380B42
	v_add_u32_e32 v29, v67, v5                                 // 000000004228: 683A0B43
	v_mul_u32_u24_dpp v64, v17, v63 quad_perm:[0,0,0,0] row_mask:0xf bank_mask:0xf// 00000000422C: 10807EFA FF000011
	v_add_u32_e32 v3, v64, v59                                 // 000000004234: 68067740
	v_mul_u32_u24_dpp v64, v17, v63 quad_perm:[0,0,0,0] row_mask:0xf bank_mask:0xf// 000000004238: 10807EFA FF000011
	v_add_u32_e32 v56, v64, v60                                // 000000004240: 68707940
	v_mfma_i32_16x16x32_i8 v[112:115], a[0:1], v[80:81], 0     // 000000004244: D3D70070 0A02A100
	buffer_load_dwordx4 a[32:35], v26, s[16:19], 0 offen       // 00000000424C: E05C1000 8084201A
	v_mfma_i32_16x16x32_i8 v[112:115], a[2:3], v[82:83], v[112:115]// 000000004254: D3D70070 0DC2A502
	v_mfma_i32_16x16x32_i8 v[112:115], a[4:5], v[84:85], v[112:115]// 00000000425C: D3D70070 0DC2A904
	buffer_load_dword v16, v1, s[24:27], 0 offen               // 000000004264: E0501000 80061001
	v_mfma_i32_16x16x32_i8 v[112:115], a[6:7], v[86:87], v[112:115]// 00000000426C: D3D70070 0DC2AD06
	v_mfma_i32_16x16x32_i8 v[116:119], a[8:9], v[80:81], 0     // 000000004274: D3D70074 0A02A108
	buffer_load_dwordx4 a[36:39], v26, s[16:19], 0 offen offset:1024// 00000000427C: E05C1400 8084241A
	v_mfma_i32_16x16x32_i8 v[116:119], a[10:11], v[82:83], v[116:119]// 000000004284: D3D70074 0DD2A50A
	v_mfma_i32_16x16x32_i8 v[116:119], a[12:13], v[84:85], v[116:119]// 00000000428C: D3D70074 0DD2A90C
	v_mfma_i32_16x16x32_i8 v[116:119], a[14:15], v[86:87], v[116:119]// 000000004294: D3D70074 0DD2AD0E
	v_mfma_i32_16x16x32_i8 v[120:123], a[16:17], v[80:81], 0   // 00000000429C: D3D70078 0A02A110
	buffer_load_dwordx4 a[40:43], v27, s[16:19], 0 offen       // 0000000042A4: E05C1000 8084281B
	v_mfma_i32_16x16x32_i8 v[120:123], a[18:19], v[82:83], v[120:123]// 0000000042AC: D3D70078 0DE2A512
	v_mfma_i32_16x16x32_i8 v[120:123], a[20:21], v[84:85], v[120:123]// 0000000042B4: D3D70078 0DE2A914
	v_mfma_i32_16x16x32_i8 v[120:123], a[22:23], v[86:87], v[120:123]// 0000000042BC: D3D70078 0DE2AD16
	v_mfma_i32_16x16x32_i8 v[124:127], a[24:25], v[80:81], 0   // 0000000042C4: D3D7007C 0A02A118
	buffer_load_dwordx4 a[44:47], v27, s[16:19], 0 offen offset:1024// 0000000042CC: E05C1400 80842C1B
	v_mfma_i32_16x16x32_i8 v[124:127], a[26:27], v[82:83], v[124:127]// 0000000042D4: D3D7007C 0DF2A51A
	v_mfma_i32_16x16x32_i8 v[124:127], a[28:29], v[84:85], v[124:127]// 0000000042DC: D3D7007C 0DF2A91C
	v_mfma_i32_16x16x32_i8 v[124:127], a[30:31], v[86:87], v[124:127]// 0000000042E4: D3D7007C 0DF2AD1E
	buffer_load_dword v43, v3, s[32:35], 0 offen               // 0000000042EC: E0501000 80082B03
	v_mov_b32_dpp v64, v42 row_shr:4 row_mask:0xf bank_mask:0xf// 0000000042F4: 7E8002FA FF01142A
	v_mov_b32_dpp v65, v42 row_shl:4 row_mask:0xf bank_mask:0xf// 0000000042FC: 7E8202FA FF01042A
	v_cndmask_b32_e64 v248, v42, v64, s[44:45]                 // 000000004304: D10000F8 00B2812A
	v_cndmask_b32_e64 v249, v65, v42, s[44:45]                 // 00000000430C: D10000F9 00B25541
	v_mov_b32_dpp v64, v248 row_shr:8 row_mask:0xf bank_mask:0xf// 000000004314: 7E8002FA FF0118F8
	v_mov_b32_dpp v65, v248 row_shl:8 row_mask:0xf bank_mask:0xf// 00000000431C: 7E8202FA FF0108F8
	v_mov_b32_dpp v66, v249 row_shr:8 row_mask:0xf bank_mask:0xf// 000000004324: 7E8402FA FF0118F9
	v_mov_b32_dpp v67, v249 row_shl:8 row_mask:0xf bank_mask:0xf// 00000000432C: 7E8602FA FF0108F9
	v_mov_b32_e32 v68, v248                                    // 000000004334: 7E8803F8
	v_mov_b32_e32 v69, v249                                    // 000000004338: 7E8A03F9
	v_cndmask_b32_e64 v248, v68, v64, s[42:43]                 // 00000000433C: D10000F8 00AA8144
	v_cndmask_b32_e64 v250, v68, v65, s[78:79]                 // 000000004344: D10000FA 013A8344
	v_cndmask_b32_e64 v249, v69, v66, s[42:43]                 // 00000000434C: D10000F9 00AA8545
	v_cndmask_b32_e64 v251, v69, v67, s[78:79]                 // 000000004354: D10000FB 013A8745
	v_mov_b32_dpp v64, v57 row_shr:4 row_mask:0xf bank_mask:0xf// 00000000435C: 7E8002FA FF011439
	v_mov_b32_dpp v65, v57 row_shl:4 row_mask:0xf bank_mask:0xf// 000000004364: 7E8202FA FF010439
	v_cndmask_b32_e64 v252, v57, v64, s[44:45]                 // 00000000436C: D10000FC 00B28139
	v_cndmask_b32_e64 v253, v65, v57, s[44:45]                 // 000000004374: D10000FD 00B27341
	v_mov_b32_dpp v64, v252 row_shr:8 row_mask:0xf bank_mask:0xf// 00000000437C: 7E8002FA FF0118FC
	v_mov_b32_dpp v65, v252 row_shl:8 row_mask:0xf bank_mask:0xf// 000000004384: 7E8202FA FF0108FC
	v_mov_b32_dpp v66, v253 row_shr:8 row_mask:0xf bank_mask:0xf// 00000000438C: 7E8402FA FF0118FD
	v_mov_b32_dpp v67, v253 row_shl:8 row_mask:0xf bank_mask:0xf// 000000004394: 7E8602FA FF0108FD
	v_mov_b32_e32 v68, v252                                    // 00000000439C: 7E8803FC
	v_mov_b32_e32 v69, v253                                    // 0000000043A0: 7E8A03FD
	v_cndmask_b32_e64 v252, v68, v64, s[42:43]                 // 0000000043A4: D10000FC 00AA8144
	v_cndmask_b32_e64 v254, v68, v65, s[78:79]                 // 0000000043AC: D10000FE 013A8344
	v_cndmask_b32_e64 v253, v69, v66, s[42:43]                 // 0000000043B4: D10000FD 00AA8545
	v_cndmask_b32_e64 v255, v69, v67, s[78:79]                 // 0000000043BC: D10000FF 013A8745
	buffer_load_dword v58, v56, s[36:39], 0 offen              // 0000000043C4: E0501000 80093A38
	v_cvt_f32_i32_e32 v112, v112                               // 0000000043CC: 7EE00B70
	v_cvt_f32_i32_e32 v113, v113                               // 0000000043D0: 7EE20B71
	v_cvt_f32_i32_e32 v114, v114                               // 0000000043D4: 7EE40B72
	v_cvt_f32_i32_e32 v115, v115                               // 0000000043D8: 7EE60B73
	v_cvt_f32_i32_e32 v116, v116                               // 0000000043DC: 7EE80B74
	v_cvt_f32_i32_e32 v117, v117                               // 0000000043E0: 7EEA0B75
	v_cvt_f32_i32_e32 v118, v118                               // 0000000043E4: 7EEC0B76
	v_cvt_f32_i32_e32 v119, v119                               // 0000000043E8: 7EEE0B77
	v_cvt_f32_i32_e32 v120, v120                               // 0000000043EC: 7EF00B78
	v_cvt_f32_i32_e32 v121, v121                               // 0000000043F0: 7EF20B79
	v_cvt_f32_i32_e32 v122, v122                               // 0000000043F4: 7EF40B7A
	v_cvt_f32_i32_e32 v123, v123                               // 0000000043F8: 7EF60B7B
	v_cvt_f32_i32_e32 v124, v124                               // 0000000043FC: 7EF80B7C
	v_cvt_f32_i32_e32 v125, v125                               // 000000004400: 7EFA0B7D
	v_cvt_f32_i32_e32 v126, v126                               // 000000004404: 7EFC0B7E
	v_cvt_f32_i32_e32 v127, v127                               // 000000004408: 7EFE0B7F
	v_mul_f32_e32 v112, v18, v112                              // 00000000440C: 0AE0E112
	v_mul_f32_e32 v113, v18, v113                              // 000000004410: 0AE2E312
	v_mul_f32_e32 v114, v18, v114                              // 000000004414: 0AE4E512
	v_mul_f32_e32 v115, v18, v115                              // 000000004418: 0AE6E712
	v_mul_f32_e32 v116, v18, v116                              // 00000000441C: 0AE8E912
	v_mul_f32_e32 v117, v18, v117                              // 000000004420: 0AEAEB12
	v_mul_f32_e32 v118, v18, v118                              // 000000004424: 0AECED12
	v_mul_f32_e32 v119, v18, v119                              // 000000004428: 0AEEEF12
	v_mul_f32_e32 v120, v18, v120                              // 00000000442C: 0AF0F112
	v_mul_f32_e32 v121, v18, v121                              // 000000004430: 0AF2F312
	v_mul_f32_e32 v122, v18, v122                              // 000000004434: 0AF4F512
	v_mul_f32_e32 v123, v18, v123                              // 000000004438: 0AF6F712
	v_mul_f32_e32 v124, v18, v124                              // 00000000443C: 0AF8F912
	v_mul_f32_e32 v125, v18, v125                              // 000000004440: 0AFAFB12
	v_mul_f32_e32 v126, v18, v126                              // 000000004444: 0AFCFD12
	v_mul_f32_e32 v127, v18, v127                              // 000000004448: 0AFEFF12
	buffer_load_dwordx4 a[48:51], v28, s[16:19], 0 offen       // 00000000444C: E05C1000 8084301C
	v_mul_f32_dpp v112, v248, v112 quad_perm:[0,0,0,0] row_mask:0xf bank_mask:0xf// 000000004454: 0AE0E0FA FF0000F8
	v_mul_f32_dpp v113, v248, v113 quad_perm:[1,1,1,1] row_mask:0xf bank_mask:0xf// 00000000445C: 0AE2E2FA FF0055F8
	v_mul_f32_dpp v114, v248, v114 quad_perm:[2,2,2,2] row_mask:0xf bank_mask:0xf// 000000004464: 0AE4E4FA FF00AAF8
	v_mul_f32_dpp v115, v248, v115 quad_perm:[3,3,3,3] row_mask:0xf bank_mask:0xf// 00000000446C: 0AE6E6FA FF00FFF8
	v_mul_f32_dpp v116, v249, v116 quad_perm:[0,0,0,0] row_mask:0xf bank_mask:0xf// 000000004474: 0AE8E8FA FF0000F9
	v_mul_f32_dpp v117, v249, v117 quad_perm:[1,1,1,1] row_mask:0xf bank_mask:0xf// 00000000447C: 0AEAEAFA FF0055F9
	v_mul_f32_dpp v118, v249, v118 quad_perm:[2,2,2,2] row_mask:0xf bank_mask:0xf// 000000004484: 0AECECFA FF00AAF9
	v_mul_f32_dpp v119, v249, v119 quad_perm:[3,3,3,3] row_mask:0xf bank_mask:0xf// 00000000448C: 0AEEEEFA FF00FFF9
	v_mul_f32_dpp v120, v250, v120 quad_perm:[0,0,0,0] row_mask:0xf bank_mask:0xf// 000000004494: 0AF0F0FA FF0000FA
	v_mul_f32_dpp v121, v250, v121 quad_perm:[1,1,1,1] row_mask:0xf bank_mask:0xf// 00000000449C: 0AF2F2FA FF0055FA
	v_mul_f32_dpp v122, v250, v122 quad_perm:[2,2,2,2] row_mask:0xf bank_mask:0xf// 0000000044A4: 0AF4F4FA FF00AAFA
	v_mul_f32_dpp v123, v250, v123 quad_perm:[3,3,3,3] row_mask:0xf bank_mask:0xf// 0000000044AC: 0AF6F6FA FF00FFFA
	v_mul_f32_dpp v124, v251, v124 quad_perm:[0,0,0,0] row_mask:0xf bank_mask:0xf// 0000000044B4: 0AF8F8FA FF0000FB
	v_mul_f32_dpp v125, v251, v125 quad_perm:[1,1,1,1] row_mask:0xf bank_mask:0xf// 0000000044BC: 0AFAFAFA FF0055FB
	v_mul_f32_dpp v126, v251, v126 quad_perm:[2,2,2,2] row_mask:0xf bank_mask:0xf// 0000000044C4: 0AFCFCFA FF00AAFB
	v_mul_f32_dpp v127, v251, v127 quad_perm:[3,3,3,3] row_mask:0xf bank_mask:0xf// 0000000044CC: 0AFEFEFA FF00FFFB
	buffer_load_dwordx4 a[52:55], v28, s[16:19], 0 offen offset:1024// 0000000044D4: E05C1400 8084341C
	s_cmp_le_i32 s90, s89                                      // 0000000044DC: BF05595A
	s_cbranch_scc1 label_092A                                  // 0000000044E0: BF850071
	v_mov_b32_e32 v66, 0xff800000                              // 0000000044E4: 7E8402FF FF800000
	s_mov_b32 s60, s90                                         // 0000000044EC: BEBC005A
	s_add_u32 s61, s89, 0xff                                   // 0000000044F0: 803DFF59 000000FF
	v_mov_b32_e32 v64, s61                                     // 0000000044F8: 7E80023D
	v_lshrrev_b32_e32 v240, 4, v0                              // 0000000044FC: 21E00084
	v_mul_i32_i24_e32 v240, 4, v240                            // 000000004500: 0DE1E084
	v_add_u32_e32 v240, s60, v240                              // 000000004504: 69E1E03C
	s_mov_b32 s61, 0                                           // 000000004508: BEBD0080
	s_mul_i32 s60, 16, s7                                      // 00000000450C: 923C0790
	v_sub_u32_e64 v240, v240, s61                              // 000000004510: D13500F0 00007BF0
	v_add_u32_e32 v240, s60, v240                              // 000000004518: 69E1E03C
	v_add_u32_e32 v241, 1, v240                                // 00000000451C: 69E3E081
	v_add_u32_e32 v242, 2, v240                                // 000000004520: 69E5E082
	v_add_u32_e32 v243, 3, v240                                // 000000004524: 69E7E083
	v_cmp_le_u32_e64 s[40:41], v240, v64                       // 000000004528: D0CB0028 000281F0
	v_add_u32_e32 v240, 64, v240                               // 000000004530: 69E1E0C0
	s_nop 0                                                    // 000000004534: BF800000
	v_cndmask_b32_e64 v112, v66, v112, s[40:41]                // 000000004538: D1000070 00A2E142
	v_cmp_le_u32_e64 s[40:41], v241, v64                       // 000000004540: D0CB0028 000281F1
	v_add_u32_e32 v241, 64, v241                               // 000000004548: 69E3E2C0
	s_nop 0                                                    // 00000000454C: BF800000
	v_cndmask_b32_e64 v113, v66, v113, s[40:41]                // 000000004550: D1000071 00A2E342
	v_cmp_le_u32_e64 s[40:41], v242, v64                       // 000000004558: D0CB0028 000281F2
	v_add_u32_e32 v242, 64, v242                               // 000000004560: 69E5E4C0
	s_nop 0                                                    // 000000004564: BF800000
	v_cndmask_b32_e64 v114, v66, v114, s[40:41]                // 000000004568: D1000072 00A2E542
	v_cmp_le_u32_e64 s[40:41], v243, v64                       // 000000004570: D0CB0028 000281F3
	v_add_u32_e32 v243, 64, v243                               // 000000004578: 69E7E6C0
	s_nop 0                                                    // 00000000457C: BF800000
	v_cndmask_b32_e64 v115, v66, v115, s[40:41]                // 000000004580: D1000073 00A2E742
	v_cmp_le_u32_e64 s[40:41], v240, v64                       // 000000004588: D0CB0028 000281F0
	v_add_u32_e32 v240, 64, v240                               // 000000004590: 69E1E0C0
	s_nop 0                                                    // 000000004594: BF800000
	v_cndmask_b32_e64 v116, v66, v116, s[40:41]                // 000000004598: D1000074 00A2E942
	v_cmp_le_u32_e64 s[40:41], v241, v64                       // 0000000045A0: D0CB0028 000281F1
	v_add_u32_e32 v241, 64, v241                               // 0000000045A8: 69E3E2C0
	s_nop 0                                                    // 0000000045AC: BF800000
	v_cndmask_b32_e64 v117, v66, v117, s[40:41]                // 0000000045B0: D1000075 00A2EB42
	v_cmp_le_u32_e64 s[40:41], v242, v64                       // 0000000045B8: D0CB0028 000281F2
	v_add_u32_e32 v242, 64, v242                               // 0000000045C0: 69E5E4C0
	s_nop 0                                                    // 0000000045C4: BF800000
	v_cndmask_b32_e64 v118, v66, v118, s[40:41]                // 0000000045C8: D1000076 00A2ED42
	v_cmp_le_u32_e64 s[40:41], v243, v64                       // 0000000045D0: D0CB0028 000281F3
	v_add_u32_e32 v243, 64, v243                               // 0000000045D8: 69E7E6C0
	s_nop 0                                                    // 0000000045DC: BF800000
	v_cndmask_b32_e64 v119, v66, v119, s[40:41]                // 0000000045E0: D1000077 00A2EF42
	v_cmp_le_u32_e64 s[40:41], v240, v64                       // 0000000045E8: D0CB0028 000281F0
	v_add_u32_e32 v240, 64, v240                               // 0000000045F0: 69E1E0C0
	s_nop 0                                                    // 0000000045F4: BF800000
	v_cndmask_b32_e64 v120, v66, v120, s[40:41]                // 0000000045F8: D1000078 00A2F142
	v_cmp_le_u32_e64 s[40:41], v241, v64                       // 000000004600: D0CB0028 000281F1
	v_add_u32_e32 v241, 64, v241                               // 000000004608: 69E3E2C0
	s_nop 0                                                    // 00000000460C: BF800000
	v_cndmask_b32_e64 v121, v66, v121, s[40:41]                // 000000004610: D1000079 00A2F342
	v_cmp_le_u32_e64 s[40:41], v242, v64                       // 000000004618: D0CB0028 000281F2
	v_add_u32_e32 v242, 64, v242                               // 000000004620: 69E5E4C0
	s_nop 0                                                    // 000000004624: BF800000
	v_cndmask_b32_e64 v122, v66, v122, s[40:41]                // 000000004628: D100007A 00A2F542
	v_cmp_le_u32_e64 s[40:41], v243, v64                       // 000000004630: D0CB0028 000281F3
	v_add_u32_e32 v243, 64, v243                               // 000000004638: 69E7E6C0
	s_nop 0                                                    // 00000000463C: BF800000
	v_cndmask_b32_e64 v123, v66, v123, s[40:41]                // 000000004640: D100007B 00A2F742
	v_cmp_le_u32_e64 s[40:41], v240, v64                       // 000000004648: D0CB0028 000281F0
	v_add_u32_e32 v240, 64, v240                               // 000000004650: 69E1E0C0
	s_nop 0                                                    // 000000004654: BF800000
	v_cndmask_b32_e64 v124, v66, v124, s[40:41]                // 000000004658: D100007C 00A2F942
	v_cmp_le_u32_e64 s[40:41], v241, v64                       // 000000004660: D0CB0028 000281F1
	v_add_u32_e32 v241, 64, v241                               // 000000004668: 69E3E2C0
	s_nop 0                                                    // 00000000466C: BF800000
	v_cndmask_b32_e64 v125, v66, v125, s[40:41]                // 000000004670: D100007D 00A2FB42
	v_cmp_le_u32_e64 s[40:41], v242, v64                       // 000000004678: D0CB0028 000281F2
	v_add_u32_e32 v242, 64, v242                               // 000000004680: 69E5E4C0
	s_nop 0                                                    // 000000004684: BF800000
	v_cndmask_b32_e64 v126, v66, v126, s[40:41]                // 000000004688: D100007E 00A2FD42
	v_cmp_le_u32_e64 s[40:41], v243, v64                       // 000000004690: D0CB0028 000281F3
	v_add_u32_e32 v243, 64, v243                               // 000000004698: 69E7E6C0
	s_nop 0                                                    // 00000000469C: BF800000
	v_cndmask_b32_e64 v127, v66, v127, s[40:41]                // 0000000046A0: D100007F 00A2FF42

00000000000046a8 <label_092A>:
	s_add_u32 s90, s91, s90                                    // 0000000046A8: 805A5A5B
	v_mov_b32_e32 v48, v112                                    // 0000000046AC: 7E600370
	v_max3_f32 v48, v112, v113, v48                            // 0000000046B0: D1D30030 04C2E370
	v_max3_f32 v48, v114, v115, v48                            // 0000000046B8: D1D30030 04C2E772
	v_max3_f32 v48, v116, v117, v48                            // 0000000046C0: D1D30030 04C2EB74
	v_max3_f32 v48, v118, v119, v48                            // 0000000046C8: D1D30030 04C2EF76
	v_max3_f32 v48, v120, v121, v48                            // 0000000046D0: D1D30030 04C2F378
	v_max3_f32 v48, v122, v123, v48                            // 0000000046D8: D1D30030 04C2F77A
	v_max3_f32 v48, v124, v125, v48                            // 0000000046E0: D1D30030 04C2FB7C
	v_max3_f32 v48, v126, v127, v48                            // 0000000046E8: D1D30030 04C2FF7E
	ds_write_b32 v8, v48 offset:16896                          // 0000000046F0: D81A4200 00003008
	buffer_load_dwordx4 a[56:59], v29, s[16:19], 0 offen       // 0000000046F8: E05C1000 8084381D
	v_mul_u32_u24_dpp v64, v17, v54 row_newbcast:1 row_mask:0xf bank_mask:0xf// 000000004700: 10806CFA FF015111
	v_mul_u32_u24_dpp v65, v17, v54 row_newbcast:5 row_mask:0xf bank_mask:0xf// 000000004708: 10826CFA FF015511
	v_mul_u32_u24_dpp v66, v17, v54 row_newbcast:9 row_mask:0xf bank_mask:0xf// 000000004710: 10846CFA FF015911
	v_mul_u32_u24_dpp v67, v17, v54 row_newbcast:13 row_mask:0xf bank_mask:0xf// 000000004718: 10866CFA FF015D11
	v_add_u32_e32 v34, v64, v6                                 // 000000004720: 68440D40
	v_add_u32_e32 v35, v65, v6                                 // 000000004724: 68460D41
	v_add_u32_e32 v36, v66, v6                                 // 000000004728: 68480D42
	v_add_u32_e32 v37, v67, v6                                 // 00000000472C: 684A0D43
	v_mul_f32_e32 v208, v49, v208                              // 000000004730: 0BA1A131
	v_mul_f32_e32 v209, v49, v209                              // 000000004734: 0BA3A331
	v_mul_f32_e32 v210, v49, v210                              // 000000004738: 0BA5A531
	v_mul_f32_e32 v211, v49, v211                              // 00000000473C: 0BA7A731
	v_mul_f32_e32 v212, v49, v212                              // 000000004740: 0BA9A931
	v_mul_f32_e32 v213, v49, v213                              // 000000004744: 0BABAB31
	v_mul_f32_e32 v214, v49, v214                              // 000000004748: 0BADAD31
	v_mul_f32_e32 v215, v49, v215                              // 00000000474C: 0BAFAF31
	s_waitcnt lgkmcnt(0)                                       // 000000004750: BF8CC07F
	s_barrier                                                  // 000000004754: BF8A0000
	ds_read_b32 v64, v7 offset:16896                           // 000000004758: D86C4200 40000007
	ds_read_b32 v65, v7 offset:16960                           // 000000004760: D86C4240 41000007
	ds_read_b32 v66, v7 offset:17024                           // 000000004768: D86C4280 42000007
	ds_read_b32 v67, v7 offset:17088                           // 000000004770: D86C42C0 43000007
	ds_read_b32 v68, v7 offset:17152                           // 000000004778: D86C4300 44000007
	ds_read_b32 v69, v7 offset:17216                           // 000000004780: D86C4340 45000007
	ds_read_b32 v70, v7 offset:17280                           // 000000004788: D86C4380 46000007
	ds_read_b32 v71, v7 offset:17344                           // 000000004790: D86C43C0 47000007
	ds_read_b32 v72, v7 offset:17408                           // 000000004798: D86C4400 48000007
	ds_read_b32 v73, v7 offset:17472                           // 0000000047A0: D86C4440 49000007
	ds_read_b32 v74, v7 offset:17536                           // 0000000047A8: D86C4480 4A000007
	ds_read_b32 v75, v7 offset:17600                           // 0000000047B0: D86C44C0 4B000007
	ds_read_b32 v76, v7 offset:17664                           // 0000000047B8: D86C4500 4C000007
	ds_read_b32 v77, v7 offset:17728                           // 0000000047C0: D86C4540 4D000007
	ds_read_b32 v78, v7 offset:17792                           // 0000000047C8: D86C4580 4E000007
	ds_read_b32 v79, v7 offset:17856                           // 0000000047D0: D86C45C0 4F000007
	buffer_load_dwordx4 a[60:63], v29, s[16:19], 0 offen offset:1024// 0000000047D8: E05C1400 80843C1D
	v_cvt_f32_i32_e32 v176, v176                               // 0000000047E0: 7F600BB0
	v_cvt_f32_i32_e32 v177, v177                               // 0000000047E4: 7F620BB1
	v_cvt_f32_i32_e32 v178, v178                               // 0000000047E8: 7F640BB2
	v_cvt_f32_i32_e32 v179, v179                               // 0000000047EC: 7F660BB3
	v_cvt_f32_i32_e32 v180, v180                               // 0000000047F0: 7F680BB4
	v_cvt_f32_i32_e32 v181, v181                               // 0000000047F4: 7F6A0BB5
	v_cvt_f32_i32_e32 v182, v182                               // 0000000047F8: 7F6C0BB6
	v_cvt_f32_i32_e32 v183, v183                               // 0000000047FC: 7F6E0BB7
	v_mul_f32_e32 v176, v44, v176                              // 000000004800: 0B61612C
	v_mul_f32_e32 v177, v44, v177                              // 000000004804: 0B63632C
	v_mul_f32_e32 v178, v44, v178                              // 000000004808: 0B65652C
	v_mul_f32_e32 v179, v44, v179                              // 00000000480C: 0B67672C
	v_mul_f32_e32 v180, v44, v180                              // 000000004810: 0B69692C
	v_mul_f32_e32 v181, v44, v181                              // 000000004814: 0B6B6B2C
	v_mul_f32_e32 v182, v44, v182                              // 000000004818: 0B6D6D2C
	v_mul_f32_e32 v183, v44, v183                              // 00000000481C: 0B6F6F2C
	s_waitcnt lgkmcnt(0)                                       // 000000004820: BF8CC07F
	v_max3_f32 v48, v64, v65, v48                              // 000000004824: D1D30030 04C28340
	v_max3_f32 v48, v66, v67, v48                              // 00000000482C: D1D30030 04C28742
	v_max3_f32 v48, v68, v69, v48                              // 000000004834: D1D30030 04C28B44
	v_max3_f32 v48, v70, v71, v48                              // 00000000483C: D1D30030 04C28F46
	v_max3_f32 v48, v72, v73, v48                              // 000000004844: D1D30030 04C29348
	v_max3_f32 v48, v74, v75, v48                              // 00000000484C: D1D30030 04C2974A
	v_max3_f32 v48, v76, v77, v48                              // 000000004854: D1D30030 04C29B4C
	v_max3_f32 v48, v78, v79, v48                              // 00000000485C: D1D30030 04C29F4E
	buffer_load_dwordx4 a[96:99], v34, s[20:23], 0 offen       // 000000004864: E05C1000 80856022
	v_mov_b32_e32 v64, 0xff800000                              // 00000000486C: 7E8002FF FF800000
	v_cmp_eq_u32_e64 s[40:41], v64, v11                        // 000000004874: D0CA0028 00021740
	s_nop 1                                                    // 00000000487C: BF800001
	v_max_f32_e32 v15, v48, v11                                // 000000004880: 161E1730
	v_mul_f32_e32 v53, s64, v15                                // 000000004884: 0A6A1E40
	v_fma_f32 v112, v112, s64, -v53                            // 000000004888: D1CB0070 84D48170
	v_fma_f32 v113, v113, s64, -v53                            // 000000004890: D1CB0071 84D48171
	v_fma_f32 v114, v114, s64, -v53                            // 000000004898: D1CB0072 84D48172
	v_fma_f32 v115, v115, s64, -v53                            // 0000000048A0: D1CB0073 84D48173
	v_fma_f32 v116, v116, s64, -v53                            // 0000000048A8: D1CB0074 84D48174
	v_fma_f32 v117, v117, s64, -v53                            // 0000000048B0: D1CB0075 84D48175
	v_fma_f32 v118, v118, s64, -v53                            // 0000000048B8: D1CB0076 84D48176
	v_fma_f32 v119, v119, s64, -v53                            // 0000000048C0: D1CB0077 84D48177
	v_fma_f32 v120, v120, s64, -v53                            // 0000000048C8: D1CB0078 84D48178
	v_fma_f32 v121, v121, s64, -v53                            // 0000000048D0: D1CB0079 84D48179
	v_fma_f32 v122, v122, s64, -v53                            // 0000000048D8: D1CB007A 84D4817A
	v_fma_f32 v123, v123, s64, -v53                            // 0000000048E0: D1CB007B 84D4817B
	v_fma_f32 v124, v124, s64, -v53                            // 0000000048E8: D1CB007C 84D4817C
	v_fma_f32 v125, v125, s64, -v53                            // 0000000048F0: D1CB007D 84D4817D
	v_fma_f32 v126, v126, s64, -v53                            // 0000000048F8: D1CB007E 84D4817E
	v_fma_f32 v127, v127, s64, -v53                            // 000000004900: D1CB007F 84D4817F
	buffer_load_dwordx4 a[100:103], v35, s[20:23], 0 offen     // 000000004908: E05C1000 80856423
	v_exp_f32_e32 v112, v112                                   // 000000004910: 7EE04170
	v_exp_f32_e32 v113, v113                                   // 000000004914: 7EE24171
	v_exp_f32_e32 v114, v114                                   // 000000004918: 7EE44172
	v_exp_f32_e32 v115, v115                                   // 00000000491C: 7EE64173
	v_exp_f32_e32 v116, v116                                   // 000000004920: 7EE84174
	v_exp_f32_e32 v117, v117                                   // 000000004924: 7EEA4175
	v_exp_f32_e32 v118, v118                                   // 000000004928: 7EEC4176
	v_exp_f32_e32 v119, v119                                   // 00000000492C: 7EEE4177
	v_exp_f32_e32 v120, v120                                   // 000000004930: 7EF04178
	v_exp_f32_e32 v121, v121                                   // 000000004934: 7EF24179
	v_exp_f32_e32 v122, v122                                   // 000000004938: 7EF4417A
	v_exp_f32_e32 v123, v123                                   // 00000000493C: 7EF6417B
	v_exp_f32_e32 v124, v124                                   // 000000004940: 7EF8417C
	v_exp_f32_e32 v125, v125                                   // 000000004944: 7EFA417D
	v_exp_f32_e32 v126, v126                                   // 000000004948: 7EFC417E
	v_exp_f32_e32 v127, v127                                   // 00000000494C: 7EFE417F
	buffer_load_dwordx4 a[104:107], v36, s[20:23], 0 offen     // 000000004950: E05C1000 80856824
	v_mul_f32_dpp v240, v252, v112 quad_perm:[0,0,0,0] row_mask:0xf bank_mask:0xf// 000000004958: 0BE0E0FA FF0000FC
	v_mul_f32_dpp v241, v252, v113 quad_perm:[1,1,1,1] row_mask:0xf bank_mask:0xf// 000000004960: 0BE2E2FA FF0055FC
	v_mul_f32_dpp v242, v252, v114 quad_perm:[2,2,2,2] row_mask:0xf bank_mask:0xf// 000000004968: 0BE4E4FA FF00AAFC
	v_mul_f32_dpp v243, v252, v115 quad_perm:[3,3,3,3] row_mask:0xf bank_mask:0xf// 000000004970: 0BE6E6FA FF00FFFC
	v_mul_f32_dpp v244, v253, v116 quad_perm:[0,0,0,0] row_mask:0xf bank_mask:0xf// 000000004978: 0BE8E8FA FF0000FD
	v_mul_f32_dpp v245, v253, v117 quad_perm:[1,1,1,1] row_mask:0xf bank_mask:0xf// 000000004980: 0BEAEAFA FF0055FD
	v_mul_f32_dpp v246, v253, v118 quad_perm:[2,2,2,2] row_mask:0xf bank_mask:0xf// 000000004988: 0BECECFA FF00AAFD
	v_mul_f32_dpp v247, v253, v119 quad_perm:[3,3,3,3] row_mask:0xf bank_mask:0xf// 000000004990: 0BEEEEFA FF00FFFD
	v_mul_f32_dpp v248, v254, v120 quad_perm:[0,0,0,0] row_mask:0xf bank_mask:0xf// 000000004998: 0BF0F0FA FF0000FE
	v_mul_f32_dpp v249, v254, v121 quad_perm:[1,1,1,1] row_mask:0xf bank_mask:0xf// 0000000049A0: 0BF2F2FA FF0055FE
	v_mul_f32_dpp v250, v254, v122 quad_perm:[2,2,2,2] row_mask:0xf bank_mask:0xf// 0000000049A8: 0BF4F4FA FF00AAFE
	v_mul_f32_dpp v251, v254, v123 quad_perm:[3,3,3,3] row_mask:0xf bank_mask:0xf// 0000000049B0: 0BF6F6FA FF00FFFE
	v_mul_f32_dpp v252, v255, v124 quad_perm:[0,0,0,0] row_mask:0xf bank_mask:0xf// 0000000049B8: 0BF8F8FA FF0000FF
	v_mul_f32_dpp v253, v255, v125 quad_perm:[1,1,1,1] row_mask:0xf bank_mask:0xf// 0000000049C0: 0BFAFAFA FF0055FF
	v_mul_f32_dpp v254, v255, v126 quad_perm:[2,2,2,2] row_mask:0xf bank_mask:0xf// 0000000049C8: 0BFCFCFA FF00AAFF
	v_mul_f32_dpp v255, v255, v127 quad_perm:[3,3,3,3] row_mask:0xf bank_mask:0xf// 0000000049D0: 0BFEFEFA FF00FFFF
	v_mov_b32_e32 v48, 0x358637bd                              // 0000000049D8: 7E6002FF 358637BD
	v_max3_f32 v48, |v240|, |v241|, v48                        // 0000000049E0: D1D30330 04C3E3F0
	v_max3_f32 v48, |v242|, |v243|, v48                        // 0000000049E8: D1D30330 04C3E7F2
	v_max3_f32 v48, |v244|, |v245|, v48                        // 0000000049F0: D1D30330 04C3EBF4
	v_max3_f32 v48, |v246|, |v247|, v48                        // 0000000049F8: D1D30330 04C3EFF6
	v_max3_f32 v48, |v248|, |v249|, v48                        // 000000004A00: D1D30330 04C3F3F8
	v_max3_f32 v48, |v250|, |v251|, v48                        // 000000004A08: D1D30330 04C3F7FA
	v_max3_f32 v48, |v252|, |v253|, v48                        // 000000004A10: D1D30330 04C3FBFC
	v_max3_f32 v48, |v254|, |v255|, v48                        // 000000004A18: D1D30330 04C3FFFE
	buffer_load_dwordx4 a[108:111], v37, s[20:23], 0 offen     // 000000004A20: E05C1000 80856C25
	ds_write_b32 v8, v48 offset:20992                          // 000000004A28: D81A5200 00003008
	v_sub_f32_e32 v49, v11, v15                                // 000000004A30: 04621F0B
	v_cndmask_b32_e64 v49, v49, 0, s[40:41]                    // 000000004A34: D1000031 00A10131
	v_mov_b32_e32 v11, v15                                     // 000000004A3C: 7E16030F
	v_mul_f32_e32 v49, s64, v49                                // 000000004A40: 0A626240
	v_exp_f32_e32 v49, v49                                     // 000000004A44: 7E624131
	s_waitcnt lgkmcnt(0)                                       // 000000004A48: BF8CC07F
	s_barrier                                                  // 000000004A4C: BF8A0000
	ds_read_b32 v64, v7 offset:20992                           // 000000004A50: D86C5200 40000007
	ds_read_b32 v65, v7 offset:21056                           // 000000004A58: D86C5240 41000007
	ds_read_b32 v66, v7 offset:21120                           // 000000004A60: D86C5280 42000007
	ds_read_b32 v67, v7 offset:21184                           // 000000004A68: D86C52C0 43000007
	ds_read_b32 v68, v7 offset:21248                           // 000000004A70: D86C5300 44000007
	ds_read_b32 v69, v7 offset:21312                           // 000000004A78: D86C5340 45000007
	ds_read_b32 v70, v7 offset:21376                           // 000000004A80: D86C5380 46000007
	ds_read_b32 v71, v7 offset:21440                           // 000000004A88: D86C53C0 47000007
	ds_read_b32 v72, v7 offset:21504                           // 000000004A90: D86C5400 48000007
	ds_read_b32 v73, v7 offset:21568                           // 000000004A98: D86C5440 49000007
	ds_read_b32 v74, v7 offset:21632                           // 000000004AA0: D86C5480 4A000007
	ds_read_b32 v75, v7 offset:21696                           // 000000004AA8: D86C54C0 4B000007
	ds_read_b32 v76, v7 offset:21760                           // 000000004AB0: D86C5500 4C000007
	ds_read_b32 v77, v7 offset:21824                           // 000000004AB8: D86C5540 4D000007
	ds_read_b32 v78, v7 offset:21888                           // 000000004AC0: D86C5580 4E000007
	ds_read_b32 v79, v7 offset:21952                           // 000000004AC8: D86C55C0 4F000007
	v_mul_f32_e32 v38, v49, v38                                // 000000004AD0: 0A4C4D31
	v_mov_b32_e32 v15, v112                                    // 000000004AD4: 7E1E0370
	v_add_f32_e32 v15, v113, v15                               // 000000004AD8: 021E1F71
	v_add_f32_e32 v15, v114, v15                               // 000000004ADC: 021E1F72
	v_add_f32_e32 v15, v115, v15                               // 000000004AE0: 021E1F73
	v_add_f32_e32 v15, v116, v15                               // 000000004AE4: 021E1F74
	v_add_f32_e32 v15, v117, v15                               // 000000004AE8: 021E1F75
	v_add_f32_e32 v15, v118, v15                               // 000000004AEC: 021E1F76
	v_add_f32_e32 v15, v119, v15                               // 000000004AF0: 021E1F77
	v_add_f32_e32 v15, v120, v15                               // 000000004AF4: 021E1F78
	v_add_f32_e32 v15, v121, v15                               // 000000004AF8: 021E1F79
	v_add_f32_e32 v15, v122, v15                               // 000000004AFC: 021E1F7A
	v_add_f32_e32 v15, v123, v15                               // 000000004B00: 021E1F7B
	v_add_f32_e32 v15, v124, v15                               // 000000004B04: 021E1F7C
	v_add_f32_e32 v15, v125, v15                               // 000000004B08: 021E1F7D
	v_add_f32_e32 v15, v126, v15                               // 000000004B0C: 021E1F7E
	v_add_f32_e32 v15, v127, v15                               // 000000004B10: 021E1F7F
	v_add_f32_e32 v38, v15, v38                                // 000000004B14: 024C4D0F
	s_waitcnt lgkmcnt(0)                                       // 000000004B18: BF8CC07F
	v_max3_f32 v48, |v64|, |v65|, v48                          // 000000004B1C: D1D30330 04C28340
	v_max3_f32 v48, |v66|, |v67|, v48                          // 000000004B24: D1D30330 04C28742
	v_max3_f32 v48, |v68|, |v69|, v48                          // 000000004B2C: D1D30330 04C28B44
	v_max3_f32 v48, |v70|, |v71|, v48                          // 000000004B34: D1D30330 04C28F46
	v_max3_f32 v48, |v72|, |v73|, v48                          // 000000004B3C: D1D30330 04C29348
	v_max3_f32 v48, |v74|, |v75|, v48                          // 000000004B44: D1D30330 04C2974A
	v_max3_f32 v48, |v76|, |v77|, v48                          // 000000004B4C: D1D30330 04C29B4C
	v_max3_f32 v48, |v78|, |v79|, v48                          // 000000004B54: D1D30330 04C29F4E
	s_nop 2                                                    // 000000004B5C: BF800002
	v_rcp_f32_e32 v48, v48                                     // 000000004B60: 7E604530
	s_nop 1                                                    // 000000004B64: BF800001
	v_mul_f32_e32 v48, 0x42fe0000, v48                         // 000000004B68: 0A6060FF 42FE0000
	v_mul_f32_e32 v112, v48, v240                              // 000000004B70: 0AE1E130
	v_mul_f32_e32 v113, v48, v241                              // 000000004B74: 0AE3E330
	v_mul_f32_e32 v114, v48, v242                              // 000000004B78: 0AE5E530
	v_mul_f32_e32 v115, v48, v243                              // 000000004B7C: 0AE7E730
	v_mul_f32_e32 v116, v48, v244                              // 000000004B80: 0AE9E930
	v_mul_f32_e32 v117, v48, v245                              // 000000004B84: 0AEBEB30
	v_mul_f32_e32 v118, v48, v246                              // 000000004B88: 0AEDED30
	v_mul_f32_e32 v119, v48, v247                              // 000000004B8C: 0AEFEF30
	v_mul_f32_e32 v120, v48, v248                              // 000000004B90: 0AF1F130
	v_mul_f32_e32 v121, v48, v249                              // 000000004B94: 0AF3F330
	v_mul_f32_e32 v122, v48, v250                              // 000000004B98: 0AF5F530
	v_mul_f32_e32 v123, v48, v251                              // 000000004B9C: 0AF7F730
	v_mul_f32_e32 v124, v48, v252                              // 000000004BA0: 0AF9F930
	v_mul_f32_e32 v125, v48, v253                              // 000000004BA4: 0AFBFB30
	v_mul_f32_e32 v126, v48, v254                              // 000000004BA8: 0AFDFD30
	v_mul_f32_e32 v127, v48, v255                              // 000000004BAC: 0AFFFF30
	v_cvt_i32_f32_e32 v112, v112                               // 000000004BB0: 7EE01170
	v_cvt_i32_f32_e32 v113, v113                               // 000000004BB4: 7EE21171
	v_cvt_i32_f32_e32 v114, v114                               // 000000004BB8: 7EE41172
	v_cvt_i32_f32_e32 v115, v115                               // 000000004BBC: 7EE61173
	v_cvt_i32_f32_e32 v116, v116                               // 000000004BC0: 7EE81174
	v_cvt_i32_f32_e32 v117, v117                               // 000000004BC4: 7EEA1175
	v_cvt_i32_f32_e32 v118, v118                               // 000000004BC8: 7EEC1176
	v_cvt_i32_f32_e32 v119, v119                               // 000000004BCC: 7EEE1177
	v_cvt_i32_f32_e32 v120, v120                               // 000000004BD0: 7EF01178
	v_cvt_i32_f32_e32 v121, v121                               // 000000004BD4: 7EF21179
	v_cvt_i32_f32_e32 v122, v122                               // 000000004BD8: 7EF4117A
	v_cvt_i32_f32_e32 v123, v123                               // 000000004BDC: 7EF6117B
	v_cvt_i32_f32_e32 v124, v124                               // 000000004BE0: 7EF8117C
	v_cvt_i32_f32_e32 v125, v125                               // 000000004BE4: 7EFA117D
	v_cvt_i32_f32_e32 v126, v126                               // 000000004BE8: 7EFC117E
	v_cvt_i32_f32_e32 v127, v127                               // 000000004BEC: 7EFE117F
	v_perm_b32 v112, v113, v112, s53                           // 000000004BF0: D1ED0070 00D6E171
	v_perm_b32 v112, v114, v112, s54                           // 000000004BF8: D1ED0070 00DAE172
	v_perm_b32 v112, v115, v112, s55                           // 000000004C00: D1ED0070 00DEE173
	v_perm_b32 v113, v117, v116, s53                           // 000000004C08: D1ED0071 00D6E975
	v_perm_b32 v113, v118, v113, s54                           // 000000004C10: D1ED0071 00DAE376
	v_perm_b32 v113, v119, v113, s55                           // 000000004C18: D1ED0071 00DEE377
	v_perm_b32 v114, v121, v120, s53                           // 000000004C20: D1ED0072 00D6F179
	v_perm_b32 v114, v122, v114, s54                           // 000000004C28: D1ED0072 00DAE57A
	v_perm_b32 v114, v123, v114, s55                           // 000000004C30: D1ED0072 00DEE57B
	v_perm_b32 v115, v125, v124, s53                           // 000000004C38: D1ED0073 00D6F97D
	v_perm_b32 v115, v126, v115, s54                           // 000000004C40: D1ED0073 00DAE77E
	v_perm_b32 v115, v127, v115, s55                           // 000000004C48: D1ED0073 00DEE77F
	ds_write_b32 v10, v112 offset:25088                        // 000000004C50: D81A6200 0000700A
	ds_write_b32 v10, v113 offset:26112                        // 000000004C58: D81A6600 0000710A
	ds_write_b32 v10, v114 offset:27136                        // 000000004C60: D81A6A00 0000720A
	ds_write_b32 v10, v115 offset:28160                        // 000000004C68: D81A6E00 0000730A
	v_add_f32_e32 v208, v208, v176                             // 000000004C70: 03A161D0
	v_add_f32_e32 v209, v209, v177                             // 000000004C74: 03A363D1
	v_add_f32_e32 v210, v210, v178                             // 000000004C78: 03A565D2
	v_add_f32_e32 v211, v211, v179                             // 000000004C7C: 03A767D3
	v_add_f32_e32 v212, v212, v180                             // 000000004C80: 03A969D4
	v_add_f32_e32 v213, v213, v181                             // 000000004C84: 03AB6BD5
	v_add_f32_e32 v214, v214, v182                             // 000000004C88: 03AD6DD6
	v_add_f32_e32 v215, v215, v183                             // 000000004C8C: 03AF6FD7
	v_rcp_f32_e32 v44, v48                                     // 000000004C90: 7E584530
	s_waitcnt lgkmcnt(0)                                       // 000000004C94: BF8CC07F
	s_barrier                                                  // 000000004C98: BF8A0000
	ds_read_b64 v[112:113], v9 offset:25088                    // 000000004C9C: D8EC6200 70000009
	ds_read_b64 v[114:115], v9 offset:25216                    // 000000004CA4: D8EC6280 72000009
	ds_read_b64 v[116:117], v9 offset:26112                    // 000000004CAC: D8EC6600 74000009
	ds_read_b64 v[118:119], v9 offset:26240                    // 000000004CB4: D8EC6680 76000009
	ds_read_b64 v[120:121], v9 offset:27136                    // 000000004CBC: D8EC6A00 78000009
	ds_read_b64 v[122:123], v9 offset:27264                    // 000000004CC4: D8EC6A80 7A000009
	ds_read_b64 v[124:125], v9 offset:28160                    // 000000004CCC: D8EC6E00 7C000009
	ds_read_b64 v[126:127], v9 offset:28288                    // 000000004CD4: D8EC6E80 7E000009
	s_waitcnt vmcnt(15)                                        // 000000004CDC: BF8C0F7F
	s_waitcnt lgkmcnt(7)                                       // 000000004CE0: BF8CC77F
	v_mfma_i32_16x16x32_i8 v[176:179], a[64:65], v[112:113], 0 // 000000004CE4: D3D700B0 0A02E140
	buffer_load_dwordx4 a[112:115], v34, s[20:23], 0 offen offset:1024// 000000004CEC: E05C1400 80857022
	s_waitcnt lgkmcnt(6)                                       // 000000004CF4: BF8CC67F
	v_mfma_i32_16x16x32_i8 v[176:179], a[66:67], v[114:115], v[176:179]// 000000004CF8: D3D700B0 0EC2E542
	s_waitcnt lgkmcnt(5)                                       // 000000004D00: BF8CC57F
	v_mfma_i32_16x16x32_i8 v[176:179], a[68:69], v[116:117], v[176:179]// 000000004D04: D3D700B0 0EC2E944
	s_waitcnt lgkmcnt(4)                                       // 000000004D0C: BF8CC47F
	v_mfma_i32_16x16x32_i8 v[176:179], a[70:71], v[118:119], v[176:179]// 000000004D10: D3D700B0 0EC2ED46
	s_waitcnt lgkmcnt(3)                                       // 000000004D18: BF8CC37F
	v_mfma_i32_16x16x32_i8 v[176:179], a[72:73], v[120:121], v[176:179]// 000000004D1C: D3D700B0 0EC2F148
	buffer_load_dwordx4 a[116:119], v35, s[20:23], 0 offen offset:1024// 000000004D24: E05C1400 80857423
	s_waitcnt lgkmcnt(2)                                       // 000000004D2C: BF8CC27F
	v_mfma_i32_16x16x32_i8 v[176:179], a[74:75], v[122:123], v[176:179]// 000000004D30: D3D700B0 0EC2F54A
	s_waitcnt lgkmcnt(1)                                       // 000000004D38: BF8CC17F
	v_mfma_i32_16x16x32_i8 v[176:179], a[76:77], v[124:125], v[176:179]// 000000004D3C: D3D700B0 0EC2F94C
	s_waitcnt lgkmcnt(0)                                       // 000000004D44: BF8CC07F
	v_mfma_i32_16x16x32_i8 v[176:179], a[78:79], v[126:127], v[176:179]// 000000004D48: D3D700B0 0EC2FD4E
	v_mfma_i32_16x16x32_i8 v[180:183], a[80:81], v[112:113], 0 // 000000004D50: D3D700B4 0A02E150
	buffer_load_dwordx4 a[120:123], v36, s[20:23], 0 offen offset:1024// 000000004D58: E05C1400 80857824
	v_mfma_i32_16x16x32_i8 v[180:183], a[82:83], v[114:115], v[180:183]// 000000004D60: D3D700B4 0ED2E552
	v_mfma_i32_16x16x32_i8 v[180:183], a[84:85], v[116:117], v[180:183]// 000000004D68: D3D700B4 0ED2E954
	v_mfma_i32_16x16x32_i8 v[180:183], a[86:87], v[118:119], v[180:183]// 000000004D70: D3D700B4 0ED2ED56
	v_mfma_i32_16x16x32_i8 v[180:183], a[88:89], v[120:121], v[180:183]// 000000004D78: D3D700B4 0ED2F158
	buffer_load_dwordx4 a[124:127], v37, s[20:23], 0 offen offset:1024// 000000004D80: E05C1400 80857C25
	v_mfma_i32_16x16x32_i8 v[180:183], a[90:91], v[122:123], v[180:183]// 000000004D88: D3D700B4 0ED2F55A
	v_mfma_i32_16x16x32_i8 v[180:183], a[92:93], v[124:125], v[180:183]// 000000004D90: D3D700B4 0ED2F95C
	s_lshr_b32 s57, s70, 4                                     // 000000004D98: 8F398446
	s_add_u32 s57, 48, s57                                     // 000000004D9C: 803939B0
	v_mfma_i32_16x16x32_i8 v[180:183], a[94:95], v[126:127], v[180:183]// 000000004DA0: D3D700B4 0ED2FD5E
	s_cmp_ge_u32 s57, s73                                      // 000000004DA8: BF094939
	s_cselect_b32 s56, 0, s56                                  // 000000004DAC: 85383880
	v_add_u32_e32 v1, s56, v1                                  // 000000004DB0: 68020238
	s_addk_i32 s70, 0x100                                      // 000000004DB4: B7460100
	s_cmp_lt_i32 s70, s71                                      // 000000004DB8: BF044746
	s_cbranch_scc0 label_07FB                                  // 000000004DBC: BF84FD0B
	s_waitcnt vmcnt(8) lgkmcnt(0)                              // 000000004DC0: BF8C0078
	v_mul_u32_u24_dpp v64, v16, v54 row_newbcast:0 row_mask:0xf bank_mask:0xf// 000000004DC4: 10806CFA FF015010
	v_mul_u32_u24_dpp v65, v16, v54 row_newbcast:4 row_mask:0xf bank_mask:0xf// 000000004DCC: 10826CFA FF015410
	v_mul_u32_u24_dpp v66, v16, v54 row_newbcast:8 row_mask:0xf bank_mask:0xf// 000000004DD4: 10846CFA FF015810
	v_mul_u32_u24_dpp v67, v16, v54 row_newbcast:12 row_mask:0xf bank_mask:0xf// 000000004DDC: 10866CFA FF015C10
	v_add_u32_e32 v22, v64, v5                                 // 000000004DE4: 682C0B40
	v_add_u32_e32 v23, v65, v5                                 // 000000004DE8: 682E0B41
	v_add_u32_e32 v24, v66, v5                                 // 000000004DEC: 68300B42
	v_add_u32_e32 v25, v67, v5                                 // 000000004DF0: 68320B43
	v_mul_u32_u24_dpp v64, v16, v63 quad_perm:[0,0,0,0] row_mask:0xf bank_mask:0xf// 000000004DF4: 10807EFA FF000010
	v_add_u32_e32 v2, v64, v59                                 // 000000004DFC: 68047740
	v_mul_u32_u24_dpp v64, v16, v63 quad_perm:[0,0,0,0] row_mask:0xf bank_mask:0xf// 000000004E00: 10807EFA FF000010
	v_add_u32_e32 v55, v64, v60                                // 000000004E08: 686E7940
	v_mfma_i32_16x16x32_i8 v[112:115], a[32:33], v[80:81], 0   // 000000004E0C: D3D70070 0A02A120
	buffer_load_dwordx4 a[0:3], v22, s[16:19], 0 offen         // 000000004E14: E05C1000 80840016
	v_mfma_i32_16x16x32_i8 v[112:115], a[34:35], v[82:83], v[112:115]// 000000004E1C: D3D70070 0DC2A522
	v_mfma_i32_16x16x32_i8 v[112:115], a[36:37], v[84:85], v[112:115]// 000000004E24: D3D70070 0DC2A924
	buffer_load_dword v17, v1, s[24:27], 0 offen               // 000000004E2C: E0501000 80061101
	v_mfma_i32_16x16x32_i8 v[112:115], a[38:39], v[86:87], v[112:115]// 000000004E34: D3D70070 0DC2AD26
	v_mfma_i32_16x16x32_i8 v[116:119], a[40:41], v[80:81], 0   // 000000004E3C: D3D70074 0A02A128
	buffer_load_dwordx4 a[4:7], v22, s[16:19], 0 offen offset:1024// 000000004E44: E05C1400 80840416
	v_mfma_i32_16x16x32_i8 v[116:119], a[42:43], v[82:83], v[116:119]// 000000004E4C: D3D70074 0DD2A52A
	v_mfma_i32_16x16x32_i8 v[116:119], a[44:45], v[84:85], v[116:119]// 000000004E54: D3D70074 0DD2A92C
	v_mfma_i32_16x16x32_i8 v[116:119], a[46:47], v[86:87], v[116:119]// 000000004E5C: D3D70074 0DD2AD2E
	v_mfma_i32_16x16x32_i8 v[120:123], a[48:49], v[80:81], 0   // 000000004E64: D3D70078 0A02A130
	buffer_load_dwordx4 a[8:11], v23, s[16:19], 0 offen        // 000000004E6C: E05C1000 80840817
	v_mfma_i32_16x16x32_i8 v[120:123], a[50:51], v[82:83], v[120:123]// 000000004E74: D3D70078 0DE2A532
	v_mfma_i32_16x16x32_i8 v[120:123], a[52:53], v[84:85], v[120:123]// 000000004E7C: D3D70078 0DE2A934
	v_mfma_i32_16x16x32_i8 v[120:123], a[54:55], v[86:87], v[120:123]// 000000004E84: D3D70078 0DE2AD36
	v_mfma_i32_16x16x32_i8 v[124:127], a[56:57], v[80:81], 0   // 000000004E8C: D3D7007C 0A02A138
	buffer_load_dwordx4 a[12:15], v23, s[16:19], 0 offen offset:1024// 000000004E94: E05C1400 80840C17
	v_mfma_i32_16x16x32_i8 v[124:127], a[58:59], v[82:83], v[124:127]// 000000004E9C: D3D7007C 0DF2A53A
	v_mfma_i32_16x16x32_i8 v[124:127], a[60:61], v[84:85], v[124:127]// 000000004EA4: D3D7007C 0DF2A93C
	v_mfma_i32_16x16x32_i8 v[124:127], a[62:63], v[86:87], v[124:127]// 000000004EAC: D3D7007C 0DF2AD3E
	buffer_load_dword v42, v2, s[32:35], 0 offen               // 000000004EB4: E0501000 80082A02
	v_mov_b32_dpp v64, v43 row_shr:4 row_mask:0xf bank_mask:0xf// 000000004EBC: 7E8002FA FF01142B
	v_mov_b32_dpp v65, v43 row_shl:4 row_mask:0xf bank_mask:0xf// 000000004EC4: 7E8202FA FF01042B
	v_cndmask_b32_e64 v248, v43, v64, s[44:45]                 // 000000004ECC: D10000F8 00B2812B
	v_cndmask_b32_e64 v249, v65, v43, s[44:45]                 // 000000004ED4: D10000F9 00B25741
	v_mov_b32_dpp v64, v248 row_shr:8 row_mask:0xf bank_mask:0xf// 000000004EDC: 7E8002FA FF0118F8
	v_mov_b32_dpp v65, v248 row_shl:8 row_mask:0xf bank_mask:0xf// 000000004EE4: 7E8202FA FF0108F8
	v_mov_b32_dpp v66, v249 row_shr:8 row_mask:0xf bank_mask:0xf// 000000004EEC: 7E8402FA FF0118F9
	v_mov_b32_dpp v67, v249 row_shl:8 row_mask:0xf bank_mask:0xf// 000000004EF4: 7E8602FA FF0108F9
	v_mov_b32_e32 v68, v248                                    // 000000004EFC: 7E8803F8
	v_mov_b32_e32 v69, v249                                    // 000000004F00: 7E8A03F9
	v_cndmask_b32_e64 v248, v68, v64, s[42:43]                 // 000000004F04: D10000F8 00AA8144
	v_cndmask_b32_e64 v250, v68, v65, s[78:79]                 // 000000004F0C: D10000FA 013A8344
	v_cndmask_b32_e64 v249, v69, v66, s[42:43]                 // 000000004F14: D10000F9 00AA8545
	v_cndmask_b32_e64 v251, v69, v67, s[78:79]                 // 000000004F1C: D10000FB 013A8745
	v_mov_b32_dpp v64, v58 row_shr:4 row_mask:0xf bank_mask:0xf// 000000004F24: 7E8002FA FF01143A
	v_mov_b32_dpp v65, v58 row_shl:4 row_mask:0xf bank_mask:0xf// 000000004F2C: 7E8202FA FF01043A
	v_cndmask_b32_e64 v252, v58, v64, s[44:45]                 // 000000004F34: D10000FC 00B2813A
	v_cndmask_b32_e64 v253, v65, v58, s[44:45]                 // 000000004F3C: D10000FD 00B27541
	v_mov_b32_dpp v64, v252 row_shr:8 row_mask:0xf bank_mask:0xf// 000000004F44: 7E8002FA FF0118FC
	v_mov_b32_dpp v65, v252 row_shl:8 row_mask:0xf bank_mask:0xf// 000000004F4C: 7E8202FA FF0108FC
	v_mov_b32_dpp v66, v253 row_shr:8 row_mask:0xf bank_mask:0xf// 000000004F54: 7E8402FA FF0118FD
	v_mov_b32_dpp v67, v253 row_shl:8 row_mask:0xf bank_mask:0xf// 000000004F5C: 7E8602FA FF0108FD
	v_mov_b32_e32 v68, v252                                    // 000000004F64: 7E8803FC
	v_mov_b32_e32 v69, v253                                    // 000000004F68: 7E8A03FD
	v_cndmask_b32_e64 v252, v68, v64, s[42:43]                 // 000000004F6C: D10000FC 00AA8144
	v_cndmask_b32_e64 v254, v68, v65, s[78:79]                 // 000000004F74: D10000FE 013A8344
	v_cndmask_b32_e64 v253, v69, v66, s[42:43]                 // 000000004F7C: D10000FD 00AA8545
	v_cndmask_b32_e64 v255, v69, v67, s[78:79]                 // 000000004F84: D10000FF 013A8745
	buffer_load_dword v57, v55, s[36:39], 0 offen              // 000000004F8C: E0501000 80093937
	v_cvt_f32_i32_e32 v112, v112                               // 000000004F94: 7EE00B70
	v_cvt_f32_i32_e32 v113, v113                               // 000000004F98: 7EE20B71
	v_cvt_f32_i32_e32 v114, v114                               // 000000004F9C: 7EE40B72
	v_cvt_f32_i32_e32 v115, v115                               // 000000004FA0: 7EE60B73
	v_cvt_f32_i32_e32 v116, v116                               // 000000004FA4: 7EE80B74
	v_cvt_f32_i32_e32 v117, v117                               // 000000004FA8: 7EEA0B75
	v_cvt_f32_i32_e32 v118, v118                               // 000000004FAC: 7EEC0B76
	v_cvt_f32_i32_e32 v119, v119                               // 000000004FB0: 7EEE0B77
	v_cvt_f32_i32_e32 v120, v120                               // 000000004FB4: 7EF00B78
	v_cvt_f32_i32_e32 v121, v121                               // 000000004FB8: 7EF20B79
	v_cvt_f32_i32_e32 v122, v122                               // 000000004FBC: 7EF40B7A
	v_cvt_f32_i32_e32 v123, v123                               // 000000004FC0: 7EF60B7B
	v_cvt_f32_i32_e32 v124, v124                               // 000000004FC4: 7EF80B7C
	v_cvt_f32_i32_e32 v125, v125                               // 000000004FC8: 7EFA0B7D
	v_cvt_f32_i32_e32 v126, v126                               // 000000004FCC: 7EFC0B7E
	v_cvt_f32_i32_e32 v127, v127                               // 000000004FD0: 7EFE0B7F
	v_mul_f32_e32 v112, v18, v112                              // 000000004FD4: 0AE0E112
	v_mul_f32_e32 v113, v18, v113                              // 000000004FD8: 0AE2E312
	v_mul_f32_e32 v114, v18, v114                              // 000000004FDC: 0AE4E512
	v_mul_f32_e32 v115, v18, v115                              // 000000004FE0: 0AE6E712
	v_mul_f32_e32 v116, v18, v116                              // 000000004FE4: 0AE8E912
	v_mul_f32_e32 v117, v18, v117                              // 000000004FE8: 0AEAEB12
	v_mul_f32_e32 v118, v18, v118                              // 000000004FEC: 0AECED12
	v_mul_f32_e32 v119, v18, v119                              // 000000004FF0: 0AEEEF12
	v_mul_f32_e32 v120, v18, v120                              // 000000004FF4: 0AF0F112
	v_mul_f32_e32 v121, v18, v121                              // 000000004FF8: 0AF2F312
	v_mul_f32_e32 v122, v18, v122                              // 000000004FFC: 0AF4F512
	v_mul_f32_e32 v123, v18, v123                              // 000000005000: 0AF6F712
	v_mul_f32_e32 v124, v18, v124                              // 000000005004: 0AF8F912
	v_mul_f32_e32 v125, v18, v125                              // 000000005008: 0AFAFB12
	v_mul_f32_e32 v126, v18, v126                              // 00000000500C: 0AFCFD12
	v_mul_f32_e32 v127, v18, v127                              // 000000005010: 0AFEFF12
	buffer_load_dwordx4 a[16:19], v24, s[16:19], 0 offen       // 000000005014: E05C1000 80841018
	v_mul_f32_dpp v112, v248, v112 quad_perm:[0,0,0,0] row_mask:0xf bank_mask:0xf// 00000000501C: 0AE0E0FA FF0000F8
	v_mul_f32_dpp v113, v248, v113 quad_perm:[1,1,1,1] row_mask:0xf bank_mask:0xf// 000000005024: 0AE2E2FA FF0055F8
	v_mul_f32_dpp v114, v248, v114 quad_perm:[2,2,2,2] row_mask:0xf bank_mask:0xf// 00000000502C: 0AE4E4FA FF00AAF8
	v_mul_f32_dpp v115, v248, v115 quad_perm:[3,3,3,3] row_mask:0xf bank_mask:0xf// 000000005034: 0AE6E6FA FF00FFF8
	v_mul_f32_dpp v116, v249, v116 quad_perm:[0,0,0,0] row_mask:0xf bank_mask:0xf// 00000000503C: 0AE8E8FA FF0000F9
	v_mul_f32_dpp v117, v249, v117 quad_perm:[1,1,1,1] row_mask:0xf bank_mask:0xf// 000000005044: 0AEAEAFA FF0055F9
	v_mul_f32_dpp v118, v249, v118 quad_perm:[2,2,2,2] row_mask:0xf bank_mask:0xf// 00000000504C: 0AECECFA FF00AAF9
	v_mul_f32_dpp v119, v249, v119 quad_perm:[3,3,3,3] row_mask:0xf bank_mask:0xf// 000000005054: 0AEEEEFA FF00FFF9
	v_mul_f32_dpp v120, v250, v120 quad_perm:[0,0,0,0] row_mask:0xf bank_mask:0xf// 00000000505C: 0AF0F0FA FF0000FA
	v_mul_f32_dpp v121, v250, v121 quad_perm:[1,1,1,1] row_mask:0xf bank_mask:0xf// 000000005064: 0AF2F2FA FF0055FA
	v_mul_f32_dpp v122, v250, v122 quad_perm:[2,2,2,2] row_mask:0xf bank_mask:0xf// 00000000506C: 0AF4F4FA FF00AAFA
	v_mul_f32_dpp v123, v250, v123 quad_perm:[3,3,3,3] row_mask:0xf bank_mask:0xf// 000000005074: 0AF6F6FA FF00FFFA
	v_mul_f32_dpp v124, v251, v124 quad_perm:[0,0,0,0] row_mask:0xf bank_mask:0xf// 00000000507C: 0AF8F8FA FF0000FB
	v_mul_f32_dpp v125, v251, v125 quad_perm:[1,1,1,1] row_mask:0xf bank_mask:0xf// 000000005084: 0AFAFAFA FF0055FB
	v_mul_f32_dpp v126, v251, v126 quad_perm:[2,2,2,2] row_mask:0xf bank_mask:0xf// 00000000508C: 0AFCFCFA FF00AAFB
	v_mul_f32_dpp v127, v251, v127 quad_perm:[3,3,3,3] row_mask:0xf bank_mask:0xf// 000000005094: 0AFEFEFA FF00FFFB
	buffer_load_dwordx4 a[20:23], v24, s[16:19], 0 offen offset:1024// 00000000509C: E05C1400 80841418
	s_cmp_le_i32 s90, s89                                      // 0000000050A4: BF05595A
	s_cbranch_scc1 label_0C1C                                  // 0000000050A8: BF850071
	v_mov_b32_e32 v66, 0xff800000                              // 0000000050AC: 7E8402FF FF800000
	s_mov_b32 s60, s90                                         // 0000000050B4: BEBC005A
	s_add_u32 s61, s89, 0xff                                   // 0000000050B8: 803DFF59 000000FF
	v_mov_b32_e32 v64, s61                                     // 0000000050C0: 7E80023D
	v_lshrrev_b32_e32 v240, 4, v0                              // 0000000050C4: 21E00084
	v_mul_i32_i24_e32 v240, 4, v240                            // 0000000050C8: 0DE1E084
	v_add_u32_e32 v240, s60, v240                              // 0000000050CC: 69E1E03C
	s_mov_b32 s61, 0                                           // 0000000050D0: BEBD0080
	s_mul_i32 s60, 16, s7                                      // 0000000050D4: 923C0790
	v_sub_u32_e64 v240, v240, s61                              // 0000000050D8: D13500F0 00007BF0
	v_add_u32_e32 v240, s60, v240                              // 0000000050E0: 69E1E03C
	v_add_u32_e32 v241, 1, v240                                // 0000000050E4: 69E3E081
	v_add_u32_e32 v242, 2, v240                                // 0000000050E8: 69E5E082
	v_add_u32_e32 v243, 3, v240                                // 0000000050EC: 69E7E083
	v_cmp_le_u32_e64 s[40:41], v240, v64                       // 0000000050F0: D0CB0028 000281F0
	v_add_u32_e32 v240, 64, v240                               // 0000000050F8: 69E1E0C0
	s_nop 0                                                    // 0000000050FC: BF800000
	v_cndmask_b32_e64 v112, v66, v112, s[40:41]                // 000000005100: D1000070 00A2E142
	v_cmp_le_u32_e64 s[40:41], v241, v64                       // 000000005108: D0CB0028 000281F1
	v_add_u32_e32 v241, 64, v241                               // 000000005110: 69E3E2C0
	s_nop 0                                                    // 000000005114: BF800000
	v_cndmask_b32_e64 v113, v66, v113, s[40:41]                // 000000005118: D1000071 00A2E342
	v_cmp_le_u32_e64 s[40:41], v242, v64                       // 000000005120: D0CB0028 000281F2
	v_add_u32_e32 v242, 64, v242                               // 000000005128: 69E5E4C0
	s_nop 0                                                    // 00000000512C: BF800000
	v_cndmask_b32_e64 v114, v66, v114, s[40:41]                // 000000005130: D1000072 00A2E542
	v_cmp_le_u32_e64 s[40:41], v243, v64                       // 000000005138: D0CB0028 000281F3
	v_add_u32_e32 v243, 64, v243                               // 000000005140: 69E7E6C0
	s_nop 0                                                    // 000000005144: BF800000
	v_cndmask_b32_e64 v115, v66, v115, s[40:41]                // 000000005148: D1000073 00A2E742
	v_cmp_le_u32_e64 s[40:41], v240, v64                       // 000000005150: D0CB0028 000281F0
	v_add_u32_e32 v240, 64, v240                               // 000000005158: 69E1E0C0
	s_nop 0                                                    // 00000000515C: BF800000
	v_cndmask_b32_e64 v116, v66, v116, s[40:41]                // 000000005160: D1000074 00A2E942
	v_cmp_le_u32_e64 s[40:41], v241, v64                       // 000000005168: D0CB0028 000281F1
	v_add_u32_e32 v241, 64, v241                               // 000000005170: 69E3E2C0
	s_nop 0                                                    // 000000005174: BF800000
	v_cndmask_b32_e64 v117, v66, v117, s[40:41]                // 000000005178: D1000075 00A2EB42
	v_cmp_le_u32_e64 s[40:41], v242, v64                       // 000000005180: D0CB0028 000281F2
	v_add_u32_e32 v242, 64, v242                               // 000000005188: 69E5E4C0
	s_nop 0                                                    // 00000000518C: BF800000
	v_cndmask_b32_e64 v118, v66, v118, s[40:41]                // 000000005190: D1000076 00A2ED42
	v_cmp_le_u32_e64 s[40:41], v243, v64                       // 000000005198: D0CB0028 000281F3
	v_add_u32_e32 v243, 64, v243                               // 0000000051A0: 69E7E6C0
	s_nop 0                                                    // 0000000051A4: BF800000
	v_cndmask_b32_e64 v119, v66, v119, s[40:41]                // 0000000051A8: D1000077 00A2EF42
	v_cmp_le_u32_e64 s[40:41], v240, v64                       // 0000000051B0: D0CB0028 000281F0
	v_add_u32_e32 v240, 64, v240                               // 0000000051B8: 69E1E0C0
	s_nop 0                                                    // 0000000051BC: BF800000
	v_cndmask_b32_e64 v120, v66, v120, s[40:41]                // 0000000051C0: D1000078 00A2F142
	v_cmp_le_u32_e64 s[40:41], v241, v64                       // 0000000051C8: D0CB0028 000281F1
	v_add_u32_e32 v241, 64, v241                               // 0000000051D0: 69E3E2C0
	s_nop 0                                                    // 0000000051D4: BF800000
	v_cndmask_b32_e64 v121, v66, v121, s[40:41]                // 0000000051D8: D1000079 00A2F342
	v_cmp_le_u32_e64 s[40:41], v242, v64                       // 0000000051E0: D0CB0028 000281F2
	v_add_u32_e32 v242, 64, v242                               // 0000000051E8: 69E5E4C0
	s_nop 0                                                    // 0000000051EC: BF800000
	v_cndmask_b32_e64 v122, v66, v122, s[40:41]                // 0000000051F0: D100007A 00A2F542
	v_cmp_le_u32_e64 s[40:41], v243, v64                       // 0000000051F8: D0CB0028 000281F3
	v_add_u32_e32 v243, 64, v243                               // 000000005200: 69E7E6C0
	s_nop 0                                                    // 000000005204: BF800000
	v_cndmask_b32_e64 v123, v66, v123, s[40:41]                // 000000005208: D100007B 00A2F742
	v_cmp_le_u32_e64 s[40:41], v240, v64                       // 000000005210: D0CB0028 000281F0
	v_add_u32_e32 v240, 64, v240                               // 000000005218: 69E1E0C0
	s_nop 0                                                    // 00000000521C: BF800000
	v_cndmask_b32_e64 v124, v66, v124, s[40:41]                // 000000005220: D100007C 00A2F942
	v_cmp_le_u32_e64 s[40:41], v241, v64                       // 000000005228: D0CB0028 000281F1
	v_add_u32_e32 v241, 64, v241                               // 000000005230: 69E3E2C0
	s_nop 0                                                    // 000000005234: BF800000
	v_cndmask_b32_e64 v125, v66, v125, s[40:41]                // 000000005238: D100007D 00A2FB42
	v_cmp_le_u32_e64 s[40:41], v242, v64                       // 000000005240: D0CB0028 000281F2
	v_add_u32_e32 v242, 64, v242                               // 000000005248: 69E5E4C0
	s_nop 0                                                    // 00000000524C: BF800000
	v_cndmask_b32_e64 v126, v66, v126, s[40:41]                // 000000005250: D100007E 00A2FD42
	v_cmp_le_u32_e64 s[40:41], v243, v64                       // 000000005258: D0CB0028 000281F3
	v_add_u32_e32 v243, 64, v243                               // 000000005260: 69E7E6C0
	s_nop 0                                                    // 000000005264: BF800000
	v_cndmask_b32_e64 v127, v66, v127, s[40:41]                // 000000005268: D100007F 00A2FF42

0000000000005270 <label_0C1C>:
	s_add_u32 s90, s91, s90                                    // 000000005270: 805A5A5B
	v_mov_b32_e32 v48, v112                                    // 000000005274: 7E600370
	v_max3_f32 v48, v112, v113, v48                            // 000000005278: D1D30030 04C2E370
	v_max3_f32 v48, v114, v115, v48                            // 000000005280: D1D30030 04C2E772
	v_max3_f32 v48, v116, v117, v48                            // 000000005288: D1D30030 04C2EB74
	v_max3_f32 v48, v118, v119, v48                            // 000000005290: D1D30030 04C2EF76
	v_max3_f32 v48, v120, v121, v48                            // 000000005298: D1D30030 04C2F378
	v_max3_f32 v48, v122, v123, v48                            // 0000000052A0: D1D30030 04C2F77A
	v_max3_f32 v48, v124, v125, v48                            // 0000000052A8: D1D30030 04C2FB7C
	v_max3_f32 v48, v126, v127, v48                            // 0000000052B0: D1D30030 04C2FF7E
	ds_write_b32 v8, v48 offset:16896                          // 0000000052B8: D81A4200 00003008
	buffer_load_dwordx4 a[24:27], v25, s[16:19], 0 offen       // 0000000052C0: E05C1000 80841819
	v_mul_u32_u24_dpp v64, v16, v54 row_newbcast:1 row_mask:0xf bank_mask:0xf// 0000000052C8: 10806CFA FF015110
	v_mul_u32_u24_dpp v65, v16, v54 row_newbcast:5 row_mask:0xf bank_mask:0xf// 0000000052D0: 10826CFA FF015510
	v_mul_u32_u24_dpp v66, v16, v54 row_newbcast:9 row_mask:0xf bank_mask:0xf// 0000000052D8: 10846CFA FF015910
	v_mul_u32_u24_dpp v67, v16, v54 row_newbcast:13 row_mask:0xf bank_mask:0xf// 0000000052E0: 10866CFA FF015D10
	v_add_u32_e32 v30, v64, v6                                 // 0000000052E8: 683C0D40
	v_add_u32_e32 v31, v65, v6                                 // 0000000052EC: 683E0D41
	v_add_u32_e32 v32, v66, v6                                 // 0000000052F0: 68400D42
	v_add_u32_e32 v33, v67, v6                                 // 0000000052F4: 68420D43
	v_mul_f32_e32 v208, v49, v208                              // 0000000052F8: 0BA1A131
	v_mul_f32_e32 v209, v49, v209                              // 0000000052FC: 0BA3A331
	v_mul_f32_e32 v210, v49, v210                              // 000000005300: 0BA5A531
	v_mul_f32_e32 v211, v49, v211                              // 000000005304: 0BA7A731
	v_mul_f32_e32 v212, v49, v212                              // 000000005308: 0BA9A931
	v_mul_f32_e32 v213, v49, v213                              // 00000000530C: 0BABAB31
	v_mul_f32_e32 v214, v49, v214                              // 000000005310: 0BADAD31
	v_mul_f32_e32 v215, v49, v215                              // 000000005314: 0BAFAF31
	s_waitcnt lgkmcnt(0)                                       // 000000005318: BF8CC07F
	s_barrier                                                  // 00000000531C: BF8A0000
	ds_read_b32 v64, v7 offset:16896                           // 000000005320: D86C4200 40000007
	ds_read_b32 v65, v7 offset:16960                           // 000000005328: D86C4240 41000007
	ds_read_b32 v66, v7 offset:17024                           // 000000005330: D86C4280 42000007
	ds_read_b32 v67, v7 offset:17088                           // 000000005338: D86C42C0 43000007
	ds_read_b32 v68, v7 offset:17152                           // 000000005340: D86C4300 44000007
	ds_read_b32 v69, v7 offset:17216                           // 000000005348: D86C4340 45000007
	ds_read_b32 v70, v7 offset:17280                           // 000000005350: D86C4380 46000007
	ds_read_b32 v71, v7 offset:17344                           // 000000005358: D86C43C0 47000007
	ds_read_b32 v72, v7 offset:17408                           // 000000005360: D86C4400 48000007
	ds_read_b32 v73, v7 offset:17472                           // 000000005368: D86C4440 49000007
	ds_read_b32 v74, v7 offset:17536                           // 000000005370: D86C4480 4A000007
	ds_read_b32 v75, v7 offset:17600                           // 000000005378: D86C44C0 4B000007
	ds_read_b32 v76, v7 offset:17664                           // 000000005380: D86C4500 4C000007
	ds_read_b32 v77, v7 offset:17728                           // 000000005388: D86C4540 4D000007
	ds_read_b32 v78, v7 offset:17792                           // 000000005390: D86C4580 4E000007
	ds_read_b32 v79, v7 offset:17856                           // 000000005398: D86C45C0 4F000007
	buffer_load_dwordx4 a[28:31], v25, s[16:19], 0 offen offset:1024// 0000000053A0: E05C1400 80841C19
	v_cvt_f32_i32_e32 v176, v176                               // 0000000053A8: 7F600BB0
	v_cvt_f32_i32_e32 v177, v177                               // 0000000053AC: 7F620BB1
	v_cvt_f32_i32_e32 v178, v178                               // 0000000053B0: 7F640BB2
	v_cvt_f32_i32_e32 v179, v179                               // 0000000053B4: 7F660BB3
	v_cvt_f32_i32_e32 v180, v180                               // 0000000053B8: 7F680BB4
	v_cvt_f32_i32_e32 v181, v181                               // 0000000053BC: 7F6A0BB5
	v_cvt_f32_i32_e32 v182, v182                               // 0000000053C0: 7F6C0BB6
	v_cvt_f32_i32_e32 v183, v183                               // 0000000053C4: 7F6E0BB7
	v_mul_f32_e32 v176, v44, v176                              // 0000000053C8: 0B61612C
	v_mul_f32_e32 v177, v44, v177                              // 0000000053CC: 0B63632C
	v_mul_f32_e32 v178, v44, v178                              // 0000000053D0: 0B65652C
	v_mul_f32_e32 v179, v44, v179                              // 0000000053D4: 0B67672C
	v_mul_f32_e32 v180, v44, v180                              // 0000000053D8: 0B69692C
	v_mul_f32_e32 v181, v44, v181                              // 0000000053DC: 0B6B6B2C
	v_mul_f32_e32 v182, v44, v182                              // 0000000053E0: 0B6D6D2C
	v_mul_f32_e32 v183, v44, v183                              // 0000000053E4: 0B6F6F2C
	s_waitcnt lgkmcnt(0)                                       // 0000000053E8: BF8CC07F
	v_max3_f32 v48, v64, v65, v48                              // 0000000053EC: D1D30030 04C28340
	v_max3_f32 v48, v66, v67, v48                              // 0000000053F4: D1D30030 04C28742
	v_max3_f32 v48, v68, v69, v48                              // 0000000053FC: D1D30030 04C28B44
	v_max3_f32 v48, v70, v71, v48                              // 000000005404: D1D30030 04C28F46
	v_max3_f32 v48, v72, v73, v48                              // 00000000540C: D1D30030 04C29348
	v_max3_f32 v48, v74, v75, v48                              // 000000005414: D1D30030 04C2974A
	v_max3_f32 v48, v76, v77, v48                              // 00000000541C: D1D30030 04C29B4C
	v_max3_f32 v48, v78, v79, v48                              // 000000005424: D1D30030 04C29F4E
	buffer_load_dwordx4 a[64:67], v30, s[20:23], 0 offen       // 00000000542C: E05C1000 8085401E
	v_mov_b32_e32 v64, 0xff800000                              // 000000005434: 7E8002FF FF800000
	v_cmp_eq_u32_e64 s[40:41], v64, v11                        // 00000000543C: D0CA0028 00021740
	s_nop 1                                                    // 000000005444: BF800001
	v_max_f32_e32 v15, v48, v11                                // 000000005448: 161E1730
	v_mul_f32_e32 v53, s64, v15                                // 00000000544C: 0A6A1E40
	v_fma_f32 v112, v112, s64, -v53                            // 000000005450: D1CB0070 84D48170
	v_fma_f32 v113, v113, s64, -v53                            // 000000005458: D1CB0071 84D48171
	v_fma_f32 v114, v114, s64, -v53                            // 000000005460: D1CB0072 84D48172
	v_fma_f32 v115, v115, s64, -v53                            // 000000005468: D1CB0073 84D48173
	v_fma_f32 v116, v116, s64, -v53                            // 000000005470: D1CB0074 84D48174
	v_fma_f32 v117, v117, s64, -v53                            // 000000005478: D1CB0075 84D48175
	v_fma_f32 v118, v118, s64, -v53                            // 000000005480: D1CB0076 84D48176
	v_fma_f32 v119, v119, s64, -v53                            // 000000005488: D1CB0077 84D48177
	v_fma_f32 v120, v120, s64, -v53                            // 000000005490: D1CB0078 84D48178
	v_fma_f32 v121, v121, s64, -v53                            // 000000005498: D1CB0079 84D48179
	v_fma_f32 v122, v122, s64, -v53                            // 0000000054A0: D1CB007A 84D4817A
	v_fma_f32 v123, v123, s64, -v53                            // 0000000054A8: D1CB007B 84D4817B
	v_fma_f32 v124, v124, s64, -v53                            // 0000000054B0: D1CB007C 84D4817C
	v_fma_f32 v125, v125, s64, -v53                            // 0000000054B8: D1CB007D 84D4817D
	v_fma_f32 v126, v126, s64, -v53                            // 0000000054C0: D1CB007E 84D4817E
	v_fma_f32 v127, v127, s64, -v53                            // 0000000054C8: D1CB007F 84D4817F
	buffer_load_dwordx4 a[68:71], v31, s[20:23], 0 offen       // 0000000054D0: E05C1000 8085441F
	v_exp_f32_e32 v112, v112                                   // 0000000054D8: 7EE04170
	v_exp_f32_e32 v113, v113                                   // 0000000054DC: 7EE24171
	v_exp_f32_e32 v114, v114                                   // 0000000054E0: 7EE44172
	v_exp_f32_e32 v115, v115                                   // 0000000054E4: 7EE64173
	v_exp_f32_e32 v116, v116                                   // 0000000054E8: 7EE84174
	v_exp_f32_e32 v117, v117                                   // 0000000054EC: 7EEA4175
	v_exp_f32_e32 v118, v118                                   // 0000000054F0: 7EEC4176
	v_exp_f32_e32 v119, v119                                   // 0000000054F4: 7EEE4177
	v_exp_f32_e32 v120, v120                                   // 0000000054F8: 7EF04178
	v_exp_f32_e32 v121, v121                                   // 0000000054FC: 7EF24179
	v_exp_f32_e32 v122, v122                                   // 000000005500: 7EF4417A
	v_exp_f32_e32 v123, v123                                   // 000000005504: 7EF6417B
	v_exp_f32_e32 v124, v124                                   // 000000005508: 7EF8417C
	v_exp_f32_e32 v125, v125                                   // 00000000550C: 7EFA417D
	v_exp_f32_e32 v126, v126                                   // 000000005510: 7EFC417E
	v_exp_f32_e32 v127, v127                                   // 000000005514: 7EFE417F
	buffer_load_dwordx4 a[72:75], v32, s[20:23], 0 offen       // 000000005518: E05C1000 80854820
	v_mul_f32_dpp v240, v252, v112 quad_perm:[0,0,0,0] row_mask:0xf bank_mask:0xf// 000000005520: 0BE0E0FA FF0000FC
	v_mul_f32_dpp v241, v252, v113 quad_perm:[1,1,1,1] row_mask:0xf bank_mask:0xf// 000000005528: 0BE2E2FA FF0055FC
	v_mul_f32_dpp v242, v252, v114 quad_perm:[2,2,2,2] row_mask:0xf bank_mask:0xf// 000000005530: 0BE4E4FA FF00AAFC
	v_mul_f32_dpp v243, v252, v115 quad_perm:[3,3,3,3] row_mask:0xf bank_mask:0xf// 000000005538: 0BE6E6FA FF00FFFC
	v_mul_f32_dpp v244, v253, v116 quad_perm:[0,0,0,0] row_mask:0xf bank_mask:0xf// 000000005540: 0BE8E8FA FF0000FD
	v_mul_f32_dpp v245, v253, v117 quad_perm:[1,1,1,1] row_mask:0xf bank_mask:0xf// 000000005548: 0BEAEAFA FF0055FD
	v_mul_f32_dpp v246, v253, v118 quad_perm:[2,2,2,2] row_mask:0xf bank_mask:0xf// 000000005550: 0BECECFA FF00AAFD
	v_mul_f32_dpp v247, v253, v119 quad_perm:[3,3,3,3] row_mask:0xf bank_mask:0xf// 000000005558: 0BEEEEFA FF00FFFD
	v_mul_f32_dpp v248, v254, v120 quad_perm:[0,0,0,0] row_mask:0xf bank_mask:0xf// 000000005560: 0BF0F0FA FF0000FE
	v_mul_f32_dpp v249, v254, v121 quad_perm:[1,1,1,1] row_mask:0xf bank_mask:0xf// 000000005568: 0BF2F2FA FF0055FE
	v_mul_f32_dpp v250, v254, v122 quad_perm:[2,2,2,2] row_mask:0xf bank_mask:0xf// 000000005570: 0BF4F4FA FF00AAFE
	v_mul_f32_dpp v251, v254, v123 quad_perm:[3,3,3,3] row_mask:0xf bank_mask:0xf// 000000005578: 0BF6F6FA FF00FFFE
	v_mul_f32_dpp v252, v255, v124 quad_perm:[0,0,0,0] row_mask:0xf bank_mask:0xf// 000000005580: 0BF8F8FA FF0000FF
	v_mul_f32_dpp v253, v255, v125 quad_perm:[1,1,1,1] row_mask:0xf bank_mask:0xf// 000000005588: 0BFAFAFA FF0055FF
	v_mul_f32_dpp v254, v255, v126 quad_perm:[2,2,2,2] row_mask:0xf bank_mask:0xf// 000000005590: 0BFCFCFA FF00AAFF
	v_mul_f32_dpp v255, v255, v127 quad_perm:[3,3,3,3] row_mask:0xf bank_mask:0xf// 000000005598: 0BFEFEFA FF00FFFF
	v_mov_b32_e32 v48, 0x358637bd                              // 0000000055A0: 7E6002FF 358637BD
	v_max3_f32 v48, |v240|, |v241|, v48                        // 0000000055A8: D1D30330 04C3E3F0
	v_max3_f32 v48, |v242|, |v243|, v48                        // 0000000055B0: D1D30330 04C3E7F2
	v_max3_f32 v48, |v244|, |v245|, v48                        // 0000000055B8: D1D30330 04C3EBF4
	v_max3_f32 v48, |v246|, |v247|, v48                        // 0000000055C0: D1D30330 04C3EFF6
	v_max3_f32 v48, |v248|, |v249|, v48                        // 0000000055C8: D1D30330 04C3F3F8
	v_max3_f32 v48, |v250|, |v251|, v48                        // 0000000055D0: D1D30330 04C3F7FA
	v_max3_f32 v48, |v252|, |v253|, v48                        // 0000000055D8: D1D30330 04C3FBFC
	v_max3_f32 v48, |v254|, |v255|, v48                        // 0000000055E0: D1D30330 04C3FFFE
	buffer_load_dwordx4 a[76:79], v33, s[20:23], 0 offen       // 0000000055E8: E05C1000 80854C21
	ds_write_b32 v8, v48 offset:20992                          // 0000000055F0: D81A5200 00003008
	v_sub_f32_e32 v49, v11, v15                                // 0000000055F8: 04621F0B
	v_cndmask_b32_e64 v49, v49, 0, s[40:41]                    // 0000000055FC: D1000031 00A10131
	v_mov_b32_e32 v11, v15                                     // 000000005604: 7E16030F
	v_mul_f32_e32 v49, s64, v49                                // 000000005608: 0A626240
	v_exp_f32_e32 v49, v49                                     // 00000000560C: 7E624131
	s_waitcnt lgkmcnt(0)                                       // 000000005610: BF8CC07F
	s_barrier                                                  // 000000005614: BF8A0000
	ds_read_b32 v64, v7 offset:20992                           // 000000005618: D86C5200 40000007
	ds_read_b32 v65, v7 offset:21056                           // 000000005620: D86C5240 41000007
	ds_read_b32 v66, v7 offset:21120                           // 000000005628: D86C5280 42000007
	ds_read_b32 v67, v7 offset:21184                           // 000000005630: D86C52C0 43000007
	ds_read_b32 v68, v7 offset:21248                           // 000000005638: D86C5300 44000007
	ds_read_b32 v69, v7 offset:21312                           // 000000005640: D86C5340 45000007
	ds_read_b32 v70, v7 offset:21376                           // 000000005648: D86C5380 46000007
	ds_read_b32 v71, v7 offset:21440                           // 000000005650: D86C53C0 47000007
	ds_read_b32 v72, v7 offset:21504                           // 000000005658: D86C5400 48000007
	ds_read_b32 v73, v7 offset:21568                           // 000000005660: D86C5440 49000007
	ds_read_b32 v74, v7 offset:21632                           // 000000005668: D86C5480 4A000007
	ds_read_b32 v75, v7 offset:21696                           // 000000005670: D86C54C0 4B000007
	ds_read_b32 v76, v7 offset:21760                           // 000000005678: D86C5500 4C000007
	ds_read_b32 v77, v7 offset:21824                           // 000000005680: D86C5540 4D000007
	ds_read_b32 v78, v7 offset:21888                           // 000000005688: D86C5580 4E000007
	ds_read_b32 v79, v7 offset:21952                           // 000000005690: D86C55C0 4F000007
	v_mul_f32_e32 v38, v49, v38                                // 000000005698: 0A4C4D31
	v_mov_b32_e32 v15, v112                                    // 00000000569C: 7E1E0370
	v_add_f32_e32 v15, v113, v15                               // 0000000056A0: 021E1F71
	v_add_f32_e32 v15, v114, v15                               // 0000000056A4: 021E1F72
	v_add_f32_e32 v15, v115, v15                               // 0000000056A8: 021E1F73
	v_add_f32_e32 v15, v116, v15                               // 0000000056AC: 021E1F74
	v_add_f32_e32 v15, v117, v15                               // 0000000056B0: 021E1F75
	v_add_f32_e32 v15, v118, v15                               // 0000000056B4: 021E1F76
	v_add_f32_e32 v15, v119, v15                               // 0000000056B8: 021E1F77
	v_add_f32_e32 v15, v120, v15                               // 0000000056BC: 021E1F78
	v_add_f32_e32 v15, v121, v15                               // 0000000056C0: 021E1F79
	v_add_f32_e32 v15, v122, v15                               // 0000000056C4: 021E1F7A
	v_add_f32_e32 v15, v123, v15                               // 0000000056C8: 021E1F7B
	v_add_f32_e32 v15, v124, v15                               // 0000000056CC: 021E1F7C
	v_add_f32_e32 v15, v125, v15                               // 0000000056D0: 021E1F7D
	v_add_f32_e32 v15, v126, v15                               // 0000000056D4: 021E1F7E
	v_add_f32_e32 v15, v127, v15                               // 0000000056D8: 021E1F7F
	v_add_f32_e32 v38, v15, v38                                // 0000000056DC: 024C4D0F
	s_waitcnt lgkmcnt(0)                                       // 0000000056E0: BF8CC07F
	v_max3_f32 v48, |v64|, |v65|, v48                          // 0000000056E4: D1D30330 04C28340
	v_max3_f32 v48, |v66|, |v67|, v48                          // 0000000056EC: D1D30330 04C28742
	v_max3_f32 v48, |v68|, |v69|, v48                          // 0000000056F4: D1D30330 04C28B44
	v_max3_f32 v48, |v70|, |v71|, v48                          // 0000000056FC: D1D30330 04C28F46
	v_max3_f32 v48, |v72|, |v73|, v48                          // 000000005704: D1D30330 04C29348
	v_max3_f32 v48, |v74|, |v75|, v48                          // 00000000570C: D1D30330 04C2974A
	v_max3_f32 v48, |v76|, |v77|, v48                          // 000000005714: D1D30330 04C29B4C
	v_max3_f32 v48, |v78|, |v79|, v48                          // 00000000571C: D1D30330 04C29F4E
	s_nop 2                                                    // 000000005724: BF800002
	v_rcp_f32_e32 v48, v48                                     // 000000005728: 7E604530
	s_nop 1                                                    // 00000000572C: BF800001
	v_mul_f32_e32 v48, 0x42fe0000, v48                         // 000000005730: 0A6060FF 42FE0000
	v_mul_f32_e32 v112, v48, v240                              // 000000005738: 0AE1E130
	v_mul_f32_e32 v113, v48, v241                              // 00000000573C: 0AE3E330
	v_mul_f32_e32 v114, v48, v242                              // 000000005740: 0AE5E530
	v_mul_f32_e32 v115, v48, v243                              // 000000005744: 0AE7E730
	v_mul_f32_e32 v116, v48, v244                              // 000000005748: 0AE9E930
	v_mul_f32_e32 v117, v48, v245                              // 00000000574C: 0AEBEB30
	v_mul_f32_e32 v118, v48, v246                              // 000000005750: 0AEDED30
	v_mul_f32_e32 v119, v48, v247                              // 000000005754: 0AEFEF30
	v_mul_f32_e32 v120, v48, v248                              // 000000005758: 0AF1F130
	v_mul_f32_e32 v121, v48, v249                              // 00000000575C: 0AF3F330
	v_mul_f32_e32 v122, v48, v250                              // 000000005760: 0AF5F530
	v_mul_f32_e32 v123, v48, v251                              // 000000005764: 0AF7F730
	v_mul_f32_e32 v124, v48, v252                              // 000000005768: 0AF9F930
	v_mul_f32_e32 v125, v48, v253                              // 00000000576C: 0AFBFB30
	v_mul_f32_e32 v126, v48, v254                              // 000000005770: 0AFDFD30
	v_mul_f32_e32 v127, v48, v255                              // 000000005774: 0AFFFF30
	v_cvt_i32_f32_e32 v112, v112                               // 000000005778: 7EE01170
	v_cvt_i32_f32_e32 v113, v113                               // 00000000577C: 7EE21171
	v_cvt_i32_f32_e32 v114, v114                               // 000000005780: 7EE41172
	v_cvt_i32_f32_e32 v115, v115                               // 000000005784: 7EE61173
	v_cvt_i32_f32_e32 v116, v116                               // 000000005788: 7EE81174
	v_cvt_i32_f32_e32 v117, v117                               // 00000000578C: 7EEA1175
	v_cvt_i32_f32_e32 v118, v118                               // 000000005790: 7EEC1176
	v_cvt_i32_f32_e32 v119, v119                               // 000000005794: 7EEE1177
	v_cvt_i32_f32_e32 v120, v120                               // 000000005798: 7EF01178
	v_cvt_i32_f32_e32 v121, v121                               // 00000000579C: 7EF21179
	v_cvt_i32_f32_e32 v122, v122                               // 0000000057A0: 7EF4117A
	v_cvt_i32_f32_e32 v123, v123                               // 0000000057A4: 7EF6117B
	v_cvt_i32_f32_e32 v124, v124                               // 0000000057A8: 7EF8117C
	v_cvt_i32_f32_e32 v125, v125                               // 0000000057AC: 7EFA117D
	v_cvt_i32_f32_e32 v126, v126                               // 0000000057B0: 7EFC117E
	v_cvt_i32_f32_e32 v127, v127                               // 0000000057B4: 7EFE117F
	v_perm_b32 v112, v113, v112, s53                           // 0000000057B8: D1ED0070 00D6E171
	v_perm_b32 v112, v114, v112, s54                           // 0000000057C0: D1ED0070 00DAE172
	v_perm_b32 v112, v115, v112, s55                           // 0000000057C8: D1ED0070 00DEE173
	v_perm_b32 v113, v117, v116, s53                           // 0000000057D0: D1ED0071 00D6E975
	v_perm_b32 v113, v118, v113, s54                           // 0000000057D8: D1ED0071 00DAE376
	v_perm_b32 v113, v119, v113, s55                           // 0000000057E0: D1ED0071 00DEE377
	v_perm_b32 v114, v121, v120, s53                           // 0000000057E8: D1ED0072 00D6F179
	v_perm_b32 v114, v122, v114, s54                           // 0000000057F0: D1ED0072 00DAE57A
	v_perm_b32 v114, v123, v114, s55                           // 0000000057F8: D1ED0072 00DEE57B
	v_perm_b32 v115, v125, v124, s53                           // 000000005800: D1ED0073 00D6F97D
	v_perm_b32 v115, v126, v115, s54                           // 000000005808: D1ED0073 00DAE77E
	v_perm_b32 v115, v127, v115, s55                           // 000000005810: D1ED0073 00DEE77F
	ds_write_b32 v10, v112 offset:25088                        // 000000005818: D81A6200 0000700A
	ds_write_b32 v10, v113 offset:26112                        // 000000005820: D81A6600 0000710A
	ds_write_b32 v10, v114 offset:27136                        // 000000005828: D81A6A00 0000720A
	ds_write_b32 v10, v115 offset:28160                        // 000000005830: D81A6E00 0000730A
	v_add_f32_e32 v208, v208, v176                             // 000000005838: 03A161D0
	v_add_f32_e32 v209, v209, v177                             // 00000000583C: 03A363D1
	v_add_f32_e32 v210, v210, v178                             // 000000005840: 03A565D2
	v_add_f32_e32 v211, v211, v179                             // 000000005844: 03A767D3
	v_add_f32_e32 v212, v212, v180                             // 000000005848: 03A969D4
	v_add_f32_e32 v213, v213, v181                             // 00000000584C: 03AB6BD5
	v_add_f32_e32 v214, v214, v182                             // 000000005850: 03AD6DD6
	v_add_f32_e32 v215, v215, v183                             // 000000005854: 03AF6FD7
	v_rcp_f32_e32 v44, v48                                     // 000000005858: 7E584530
	s_waitcnt lgkmcnt(0)                                       // 00000000585C: BF8CC07F
	s_barrier                                                  // 000000005860: BF8A0000
	ds_read_b64 v[112:113], v9 offset:25088                    // 000000005864: D8EC6200 70000009
	ds_read_b64 v[114:115], v9 offset:25216                    // 00000000586C: D8EC6280 72000009
	ds_read_b64 v[116:117], v9 offset:26112                    // 000000005874: D8EC6600 74000009
	ds_read_b64 v[118:119], v9 offset:26240                    // 00000000587C: D8EC6680 76000009
	ds_read_b64 v[120:121], v9 offset:27136                    // 000000005884: D8EC6A00 78000009
	ds_read_b64 v[122:123], v9 offset:27264                    // 00000000588C: D8EC6A80 7A000009
	ds_read_b64 v[124:125], v9 offset:28160                    // 000000005894: D8EC6E00 7C000009
	ds_read_b64 v[126:127], v9 offset:28288                    // 00000000589C: D8EC6E80 7E000009
	s_waitcnt vmcnt(15)                                        // 0000000058A4: BF8C0F7F
	s_waitcnt lgkmcnt(7)                                       // 0000000058A8: BF8CC77F
	v_mfma_i32_16x16x32_i8 v[176:179], a[96:97], v[112:113], 0 // 0000000058AC: D3D700B0 0A02E160
	buffer_load_dwordx4 a[80:83], v30, s[20:23], 0 offen offset:1024// 0000000058B4: E05C1400 8085501E
	s_waitcnt lgkmcnt(6)                                       // 0000000058BC: BF8CC67F
	v_mfma_i32_16x16x32_i8 v[176:179], a[98:99], v[114:115], v[176:179]// 0000000058C0: D3D700B0 0EC2E562
	s_waitcnt lgkmcnt(5)                                       // 0000000058C8: BF8CC57F
	v_mfma_i32_16x16x32_i8 v[176:179], a[100:101], v[116:117], v[176:179]// 0000000058CC: D3D700B0 0EC2E964
	s_waitcnt lgkmcnt(4)                                       // 0000000058D4: BF8CC47F
	v_mfma_i32_16x16x32_i8 v[176:179], a[102:103], v[118:119], v[176:179]// 0000000058D8: D3D700B0 0EC2ED66
	s_waitcnt lgkmcnt(3)                                       // 0000000058E0: BF8CC37F
	v_mfma_i32_16x16x32_i8 v[176:179], a[104:105], v[120:121], v[176:179]// 0000000058E4: D3D700B0 0EC2F168
	buffer_load_dwordx4 a[84:87], v31, s[20:23], 0 offen offset:1024// 0000000058EC: E05C1400 8085541F
	s_waitcnt lgkmcnt(2)                                       // 0000000058F4: BF8CC27F
	v_mfma_i32_16x16x32_i8 v[176:179], a[106:107], v[122:123], v[176:179]// 0000000058F8: D3D700B0 0EC2F56A
	s_waitcnt lgkmcnt(1)                                       // 000000005900: BF8CC17F
	v_mfma_i32_16x16x32_i8 v[176:179], a[108:109], v[124:125], v[176:179]// 000000005904: D3D700B0 0EC2F96C
	s_waitcnt lgkmcnt(0)                                       // 00000000590C: BF8CC07F
	v_mfma_i32_16x16x32_i8 v[176:179], a[110:111], v[126:127], v[176:179]// 000000005910: D3D700B0 0EC2FD6E
	v_mfma_i32_16x16x32_i8 v[180:183], a[112:113], v[112:113], 0// 000000005918: D3D700B4 0A02E170
	buffer_load_dwordx4 a[88:91], v32, s[20:23], 0 offen offset:1024// 000000005920: E05C1400 80855820
	v_mfma_i32_16x16x32_i8 v[180:183], a[114:115], v[114:115], v[180:183]// 000000005928: D3D700B4 0ED2E572
	v_mfma_i32_16x16x32_i8 v[180:183], a[116:117], v[116:117], v[180:183]// 000000005930: D3D700B4 0ED2E974
	v_mfma_i32_16x16x32_i8 v[180:183], a[118:119], v[118:119], v[180:183]// 000000005938: D3D700B4 0ED2ED76
	v_mfma_i32_16x16x32_i8 v[180:183], a[120:121], v[120:121], v[180:183]// 000000005940: D3D700B4 0ED2F178
	buffer_load_dwordx4 a[92:95], v33, s[20:23], 0 offen offset:1024// 000000005948: E05C1400 80855C21
	v_mfma_i32_16x16x32_i8 v[180:183], a[122:123], v[122:123], v[180:183]// 000000005950: D3D700B4 0ED2F57A
	v_mfma_i32_16x16x32_i8 v[180:183], a[124:125], v[124:125], v[180:183]// 000000005958: D3D700B4 0ED2F97C
	s_lshr_b32 s57, s70, 4                                     // 000000005960: 8F398446
	s_add_u32 s57, 48, s57                                     // 000000005964: 803939B0
	v_mfma_i32_16x16x32_i8 v[180:183], a[126:127], v[126:127], v[180:183]// 000000005968: D3D700B4 0ED2FD7E
	s_cmp_ge_u32 s57, s73                                      // 000000005970: BF094939
	s_cselect_b32 s56, 0, s56                                  // 000000005974: 85383880
	v_add_u32_e32 v1, s56, v1                                  // 000000005978: 68020238
	s_addk_i32 s70, 0x100                                      // 00000000597C: B7460100
	s_cmp_lt_i32 s70, s71                                      // 000000005980: BF044746
	s_cbranch_scc0 label_07FB                                  // 000000005984: BF84FA19
	s_branch label_07FE                                        // 000000005988: BF82FA1B

000000000000598c <label_0DE3>:
	s_lshr_b32 s60, s71, 4                                     // 00000000598C: 8F3C8447
	s_cmp_eq_i32 s60, s73                                      // 000000005990: BF00493C
	s_cbranch_scc1 label_142E                                  // 000000005994: BF850648
	s_lshr_b32 s60, s71, 8                                     // 000000005998: 8F3C8847
	s_and_b32 s60, s60, 1                                      // 00000000599C: 863C813C
	s_cmp_eq_i32 s60, 1                                        // 0000000059A0: BF00813C
	s_cbranch_scc1 label_110C                                  // 0000000059A4: BF850322
	s_waitcnt vmcnt(8) lgkmcnt(0)                              // 0000000059A8: BF8C0078
	s_barrier                                                  // 0000000059AC: BF8A0000
	v_mfma_i32_16x16x32_i8 v[112:115], a[0:1], v[80:81], 0     // 0000000059B0: D3D70070 0A02A100
	v_mfma_i32_16x16x32_i8 v[112:115], a[2:3], v[82:83], v[112:115]// 0000000059B8: D3D70070 0DC2A502
	v_mfma_i32_16x16x32_i8 v[112:115], a[4:5], v[84:85], v[112:115]// 0000000059C0: D3D70070 0DC2A904
	v_mfma_i32_16x16x32_i8 v[112:115], a[6:7], v[86:87], v[112:115]// 0000000059C8: D3D70070 0DC2AD06
	v_mfma_i32_16x16x32_i8 v[116:119], a[8:9], v[80:81], 0     // 0000000059D0: D3D70074 0A02A108
	v_mfma_i32_16x16x32_i8 v[116:119], a[10:11], v[82:83], v[116:119]// 0000000059D8: D3D70074 0DD2A50A
	v_mfma_i32_16x16x32_i8 v[116:119], a[12:13], v[84:85], v[116:119]// 0000000059E0: D3D70074 0DD2A90C
	v_mfma_i32_16x16x32_i8 v[116:119], a[14:15], v[86:87], v[116:119]// 0000000059E8: D3D70074 0DD2AD0E
	v_mfma_i32_16x16x32_i8 v[120:123], a[16:17], v[80:81], 0   // 0000000059F0: D3D70078 0A02A110
	v_mfma_i32_16x16x32_i8 v[120:123], a[18:19], v[82:83], v[120:123]// 0000000059F8: D3D70078 0DE2A512
	v_mfma_i32_16x16x32_i8 v[120:123], a[20:21], v[84:85], v[120:123]// 000000005A00: D3D70078 0DE2A914
	v_mfma_i32_16x16x32_i8 v[120:123], a[22:23], v[86:87], v[120:123]// 000000005A08: D3D70078 0DE2AD16
	v_mfma_i32_16x16x32_i8 v[124:127], a[24:25], v[80:81], 0   // 000000005A10: D3D7007C 0A02A118
	v_mfma_i32_16x16x32_i8 v[124:127], a[26:27], v[82:83], v[124:127]// 000000005A18: D3D7007C 0DF2A51A
	v_mfma_i32_16x16x32_i8 v[124:127], a[28:29], v[84:85], v[124:127]// 000000005A20: D3D7007C 0DF2A91C
	v_mfma_i32_16x16x32_i8 v[124:127], a[30:31], v[86:87], v[124:127]// 000000005A28: D3D7007C 0DF2AD1E
	v_mov_b32_dpp v64, v42 row_shr:4 row_mask:0xf bank_mask:0xf// 000000005A30: 7E8002FA FF01142A
	v_mov_b32_dpp v65, v42 row_shl:4 row_mask:0xf bank_mask:0xf// 000000005A38: 7E8202FA FF01042A
	v_cndmask_b32_e64 v248, v42, v64, s[44:45]                 // 000000005A40: D10000F8 00B2812A
	v_cndmask_b32_e64 v249, v65, v42, s[44:45]                 // 000000005A48: D10000F9 00B25541
	v_mov_b32_dpp v64, v248 row_shr:8 row_mask:0xf bank_mask:0xf// 000000005A50: 7E8002FA FF0118F8
	v_mov_b32_dpp v65, v248 row_shl:8 row_mask:0xf bank_mask:0xf// 000000005A58: 7E8202FA FF0108F8
	v_mov_b32_dpp v66, v249 row_shr:8 row_mask:0xf bank_mask:0xf// 000000005A60: 7E8402FA FF0118F9
	v_mov_b32_dpp v67, v249 row_shl:8 row_mask:0xf bank_mask:0xf// 000000005A68: 7E8602FA FF0108F9
	v_mov_b32_e32 v68, v248                                    // 000000005A70: 7E8803F8
	v_mov_b32_e32 v69, v249                                    // 000000005A74: 7E8A03F9
	v_cndmask_b32_e64 v248, v68, v64, s[42:43]                 // 000000005A78: D10000F8 00AA8144
	v_cndmask_b32_e64 v250, v68, v65, s[78:79]                 // 000000005A80: D10000FA 013A8344
	v_cndmask_b32_e64 v249, v69, v66, s[42:43]                 // 000000005A88: D10000F9 00AA8545
	v_cndmask_b32_e64 v251, v69, v67, s[78:79]                 // 000000005A90: D10000FB 013A8745
	v_mov_b32_dpp v64, v57 row_shr:4 row_mask:0xf bank_mask:0xf// 000000005A98: 7E8002FA FF011439
	v_mov_b32_dpp v65, v57 row_shl:4 row_mask:0xf bank_mask:0xf// 000000005AA0: 7E8202FA FF010439
	v_cndmask_b32_e64 v252, v57, v64, s[44:45]                 // 000000005AA8: D10000FC 00B28139
	v_cndmask_b32_e64 v253, v65, v57, s[44:45]                 // 000000005AB0: D10000FD 00B27341
	v_mov_b32_dpp v64, v252 row_shr:8 row_mask:0xf bank_mask:0xf// 000000005AB8: 7E8002FA FF0118FC
	v_mov_b32_dpp v65, v252 row_shl:8 row_mask:0xf bank_mask:0xf// 000000005AC0: 7E8202FA FF0108FC
	v_mov_b32_dpp v66, v253 row_shr:8 row_mask:0xf bank_mask:0xf// 000000005AC8: 7E8402FA FF0118FD
	v_mov_b32_dpp v67, v253 row_shl:8 row_mask:0xf bank_mask:0xf// 000000005AD0: 7E8602FA FF0108FD
	v_mov_b32_e32 v68, v252                                    // 000000005AD8: 7E8803FC
	v_mov_b32_e32 v69, v253                                    // 000000005ADC: 7E8A03FD
	v_cndmask_b32_e64 v252, v68, v64, s[42:43]                 // 000000005AE0: D10000FC 00AA8144
	v_cndmask_b32_e64 v254, v68, v65, s[78:79]                 // 000000005AE8: D10000FE 013A8344
	v_cndmask_b32_e64 v253, v69, v66, s[42:43]                 // 000000005AF0: D10000FD 00AA8545
	v_cndmask_b32_e64 v255, v69, v67, s[78:79]                 // 000000005AF8: D10000FF 013A8745
	v_cvt_f32_i32_e32 v112, v112                               // 000000005B00: 7EE00B70
	v_cvt_f32_i32_e32 v113, v113                               // 000000005B04: 7EE20B71
	v_cvt_f32_i32_e32 v114, v114                               // 000000005B08: 7EE40B72
	v_cvt_f32_i32_e32 v115, v115                               // 000000005B0C: 7EE60B73
	v_cvt_f32_i32_e32 v116, v116                               // 000000005B10: 7EE80B74
	v_cvt_f32_i32_e32 v117, v117                               // 000000005B14: 7EEA0B75
	v_cvt_f32_i32_e32 v118, v118                               // 000000005B18: 7EEC0B76
	v_cvt_f32_i32_e32 v119, v119                               // 000000005B1C: 7EEE0B77
	v_cvt_f32_i32_e32 v120, v120                               // 000000005B20: 7EF00B78
	v_cvt_f32_i32_e32 v121, v121                               // 000000005B24: 7EF20B79
	v_cvt_f32_i32_e32 v122, v122                               // 000000005B28: 7EF40B7A
	v_cvt_f32_i32_e32 v123, v123                               // 000000005B2C: 7EF60B7B
	v_cvt_f32_i32_e32 v124, v124                               // 000000005B30: 7EF80B7C
	v_cvt_f32_i32_e32 v125, v125                               // 000000005B34: 7EFA0B7D
	v_cvt_f32_i32_e32 v126, v126                               // 000000005B38: 7EFC0B7E
	v_cvt_f32_i32_e32 v127, v127                               // 000000005B3C: 7EFE0B7F
	v_mul_f32_e32 v112, v18, v112                              // 000000005B40: 0AE0E112
	v_mul_f32_e32 v113, v18, v113                              // 000000005B44: 0AE2E312
	v_mul_f32_e32 v114, v18, v114                              // 000000005B48: 0AE4E512
	v_mul_f32_e32 v115, v18, v115                              // 000000005B4C: 0AE6E712
	v_mul_f32_e32 v116, v18, v116                              // 000000005B50: 0AE8E912
	v_mul_f32_e32 v117, v18, v117                              // 000000005B54: 0AEAEB12
	v_mul_f32_e32 v118, v18, v118                              // 000000005B58: 0AECED12
	v_mul_f32_e32 v119, v18, v119                              // 000000005B5C: 0AEEEF12
	v_mul_f32_e32 v120, v18, v120                              // 000000005B60: 0AF0F112
	v_mul_f32_e32 v121, v18, v121                              // 000000005B64: 0AF2F312
	v_mul_f32_e32 v122, v18, v122                              // 000000005B68: 0AF4F512
	v_mul_f32_e32 v123, v18, v123                              // 000000005B6C: 0AF6F712
	v_mul_f32_e32 v124, v18, v124                              // 000000005B70: 0AF8F912
	v_mul_f32_e32 v125, v18, v125                              // 000000005B74: 0AFAFB12
	v_mul_f32_e32 v126, v18, v126                              // 000000005B78: 0AFCFD12
	v_mul_f32_e32 v127, v18, v127                              // 000000005B7C: 0AFEFF12
	v_mul_f32_dpp v112, v248, v112 quad_perm:[0,0,0,0] row_mask:0xf bank_mask:0xf// 000000005B80: 0AE0E0FA FF0000F8
	v_mul_f32_dpp v113, v248, v113 quad_perm:[1,1,1,1] row_mask:0xf bank_mask:0xf// 000000005B88: 0AE2E2FA FF0055F8
	v_mul_f32_dpp v114, v248, v114 quad_perm:[2,2,2,2] row_mask:0xf bank_mask:0xf// 000000005B90: 0AE4E4FA FF00AAF8
	v_mul_f32_dpp v115, v248, v115 quad_perm:[3,3,3,3] row_mask:0xf bank_mask:0xf// 000000005B98: 0AE6E6FA FF00FFF8
	v_mul_f32_dpp v116, v249, v116 quad_perm:[0,0,0,0] row_mask:0xf bank_mask:0xf// 000000005BA0: 0AE8E8FA FF0000F9
	v_mul_f32_dpp v117, v249, v117 quad_perm:[1,1,1,1] row_mask:0xf bank_mask:0xf// 000000005BA8: 0AEAEAFA FF0055F9
	v_mul_f32_dpp v118, v249, v118 quad_perm:[2,2,2,2] row_mask:0xf bank_mask:0xf// 000000005BB0: 0AECECFA FF00AAF9
	v_mul_f32_dpp v119, v249, v119 quad_perm:[3,3,3,3] row_mask:0xf bank_mask:0xf// 000000005BB8: 0AEEEEFA FF00FFF9
	v_mul_f32_dpp v120, v250, v120 quad_perm:[0,0,0,0] row_mask:0xf bank_mask:0xf// 000000005BC0: 0AF0F0FA FF0000FA
	v_mul_f32_dpp v121, v250, v121 quad_perm:[1,1,1,1] row_mask:0xf bank_mask:0xf// 000000005BC8: 0AF2F2FA FF0055FA
	v_mul_f32_dpp v122, v250, v122 quad_perm:[2,2,2,2] row_mask:0xf bank_mask:0xf// 000000005BD0: 0AF4F4FA FF00AAFA
	v_mul_f32_dpp v123, v250, v123 quad_perm:[3,3,3,3] row_mask:0xf bank_mask:0xf// 000000005BD8: 0AF6F6FA FF00FFFA
	v_mul_f32_dpp v124, v251, v124 quad_perm:[0,0,0,0] row_mask:0xf bank_mask:0xf// 000000005BE0: 0AF8F8FA FF0000FB
	v_mul_f32_dpp v125, v251, v125 quad_perm:[1,1,1,1] row_mask:0xf bank_mask:0xf// 000000005BE8: 0AFAFAFA FF0055FB
	v_mul_f32_dpp v126, v251, v126 quad_perm:[2,2,2,2] row_mask:0xf bank_mask:0xf// 000000005BF0: 0AFCFCFA FF00AAFB
	v_mul_f32_dpp v127, v251, v127 quad_perm:[3,3,3,3] row_mask:0xf bank_mask:0xf// 000000005BF8: 0AFEFEFA FF00FFFB
	s_cmp_le_i32 s90, s89                                      // 000000005C00: BF05595A
	s_cbranch_scc1 label_0EF3                                  // 000000005C04: BF850071
	v_mov_b32_e32 v66, 0xff800000                              // 000000005C08: 7E8402FF FF800000
	s_mov_b32 s60, s90                                         // 000000005C10: BEBC005A
	s_add_u32 s61, s89, 0xff                                   // 000000005C14: 803DFF59 000000FF
	v_mov_b32_e32 v64, s61                                     // 000000005C1C: 7E80023D
	v_lshrrev_b32_e32 v240, 4, v0                              // 000000005C20: 21E00084
	v_mul_i32_i24_e32 v240, 4, v240                            // 000000005C24: 0DE1E084
	v_add_u32_e32 v240, s60, v240                              // 000000005C28: 69E1E03C
	s_mov_b32 s61, 0                                           // 000000005C2C: BEBD0080
	s_mul_i32 s60, 16, s7                                      // 000000005C30: 923C0790
	v_sub_u32_e64 v240, v240, s61                              // 000000005C34: D13500F0 00007BF0
	v_add_u32_e32 v240, s60, v240                              // 000000005C3C: 69E1E03C
	v_add_u32_e32 v241, 1, v240                                // 000000005C40: 69E3E081
	v_add_u32_e32 v242, 2, v240                                // 000000005C44: 69E5E082
	v_add_u32_e32 v243, 3, v240                                // 000000005C48: 69E7E083
	v_cmp_le_u32_e64 s[40:41], v240, v64                       // 000000005C4C: D0CB0028 000281F0
	v_add_u32_e32 v240, 64, v240                               // 000000005C54: 69E1E0C0
	s_nop 0                                                    // 000000005C58: BF800000
	v_cndmask_b32_e64 v112, v66, v112, s[40:41]                // 000000005C5C: D1000070 00A2E142
	v_cmp_le_u32_e64 s[40:41], v241, v64                       // 000000005C64: D0CB0028 000281F1
	v_add_u32_e32 v241, 64, v241                               // 000000005C6C: 69E3E2C0
	s_nop 0                                                    // 000000005C70: BF800000
	v_cndmask_b32_e64 v113, v66, v113, s[40:41]                // 000000005C74: D1000071 00A2E342
	v_cmp_le_u32_e64 s[40:41], v242, v64                       // 000000005C7C: D0CB0028 000281F2
	v_add_u32_e32 v242, 64, v242                               // 000000005C84: 69E5E4C0
	s_nop 0                                                    // 000000005C88: BF800000
	v_cndmask_b32_e64 v114, v66, v114, s[40:41]                // 000000005C8C: D1000072 00A2E542
	v_cmp_le_u32_e64 s[40:41], v243, v64                       // 000000005C94: D0CB0028 000281F3
	v_add_u32_e32 v243, 64, v243                               // 000000005C9C: 69E7E6C0
	s_nop 0                                                    // 000000005CA0: BF800000
	v_cndmask_b32_e64 v115, v66, v115, s[40:41]                // 000000005CA4: D1000073 00A2E742
	v_cmp_le_u32_e64 s[40:41], v240, v64                       // 000000005CAC: D0CB0028 000281F0
	v_add_u32_e32 v240, 64, v240                               // 000000005CB4: 69E1E0C0
	s_nop 0                                                    // 000000005CB8: BF800000
	v_cndmask_b32_e64 v116, v66, v116, s[40:41]                // 000000005CBC: D1000074 00A2E942
	v_cmp_le_u32_e64 s[40:41], v241, v64                       // 000000005CC4: D0CB0028 000281F1
	v_add_u32_e32 v241, 64, v241                               // 000000005CCC: 69E3E2C0
	s_nop 0                                                    // 000000005CD0: BF800000
	v_cndmask_b32_e64 v117, v66, v117, s[40:41]                // 000000005CD4: D1000075 00A2EB42
	v_cmp_le_u32_e64 s[40:41], v242, v64                       // 000000005CDC: D0CB0028 000281F2
	v_add_u32_e32 v242, 64, v242                               // 000000005CE4: 69E5E4C0
	s_nop 0                                                    // 000000005CE8: BF800000
	v_cndmask_b32_e64 v118, v66, v118, s[40:41]                // 000000005CEC: D1000076 00A2ED42
	v_cmp_le_u32_e64 s[40:41], v243, v64                       // 000000005CF4: D0CB0028 000281F3
	v_add_u32_e32 v243, 64, v243                               // 000000005CFC: 69E7E6C0
	s_nop 0                                                    // 000000005D00: BF800000
	v_cndmask_b32_e64 v119, v66, v119, s[40:41]                // 000000005D04: D1000077 00A2EF42
	v_cmp_le_u32_e64 s[40:41], v240, v64                       // 000000005D0C: D0CB0028 000281F0
	v_add_u32_e32 v240, 64, v240                               // 000000005D14: 69E1E0C0
	s_nop 0                                                    // 000000005D18: BF800000
	v_cndmask_b32_e64 v120, v66, v120, s[40:41]                // 000000005D1C: D1000078 00A2F142
	v_cmp_le_u32_e64 s[40:41], v241, v64                       // 000000005D24: D0CB0028 000281F1
	v_add_u32_e32 v241, 64, v241                               // 000000005D2C: 69E3E2C0
	s_nop 0                                                    // 000000005D30: BF800000
	v_cndmask_b32_e64 v121, v66, v121, s[40:41]                // 000000005D34: D1000079 00A2F342
	v_cmp_le_u32_e64 s[40:41], v242, v64                       // 000000005D3C: D0CB0028 000281F2
	v_add_u32_e32 v242, 64, v242                               // 000000005D44: 69E5E4C0
	s_nop 0                                                    // 000000005D48: BF800000
	v_cndmask_b32_e64 v122, v66, v122, s[40:41]                // 000000005D4C: D100007A 00A2F542
	v_cmp_le_u32_e64 s[40:41], v243, v64                       // 000000005D54: D0CB0028 000281F3
	v_add_u32_e32 v243, 64, v243                               // 000000005D5C: 69E7E6C0
	s_nop 0                                                    // 000000005D60: BF800000
	v_cndmask_b32_e64 v123, v66, v123, s[40:41]                // 000000005D64: D100007B 00A2F742
	v_cmp_le_u32_e64 s[40:41], v240, v64                       // 000000005D6C: D0CB0028 000281F0
	v_add_u32_e32 v240, 64, v240                               // 000000005D74: 69E1E0C0
	s_nop 0                                                    // 000000005D78: BF800000
	v_cndmask_b32_e64 v124, v66, v124, s[40:41]                // 000000005D7C: D100007C 00A2F942
	v_cmp_le_u32_e64 s[40:41], v241, v64                       // 000000005D84: D0CB0028 000281F1
	v_add_u32_e32 v241, 64, v241                               // 000000005D8C: 69E3E2C0
	s_nop 0                                                    // 000000005D90: BF800000
	v_cndmask_b32_e64 v125, v66, v125, s[40:41]                // 000000005D94: D100007D 00A2FB42
	v_cmp_le_u32_e64 s[40:41], v242, v64                       // 000000005D9C: D0CB0028 000281F2
	v_add_u32_e32 v242, 64, v242                               // 000000005DA4: 69E5E4C0
	s_nop 0                                                    // 000000005DA8: BF800000
	v_cndmask_b32_e64 v126, v66, v126, s[40:41]                // 000000005DAC: D100007E 00A2FD42
	v_cmp_le_u32_e64 s[40:41], v243, v64                       // 000000005DB4: D0CB0028 000281F3
	v_add_u32_e32 v243, 64, v243                               // 000000005DBC: 69E7E6C0
	s_nop 0                                                    // 000000005DC0: BF800000
	v_cndmask_b32_e64 v127, v66, v127, s[40:41]                // 000000005DC4: D100007F 00A2FF42

0000000000005dcc <label_0EF3>:
	s_add_u32 s90, s91, s90                                    // 000000005DCC: 805A5A5B
	s_and_b32 s60, s72, 0xff                                   // 000000005DD0: 863CFF48 000000FF
	v_mov_b32_e32 v65, s60                                     // 000000005DD8: 7E82023C
	v_lshrrev_b32_e32 v240, 4, v0                              // 000000005DDC: 21E00084
	v_mul_i32_i24_e32 v240, 4, v240                            // 000000005DE0: 0DE1E084
	s_mul_i32 s60, s7, 16                                      // 000000005DE4: 923C9007
	v_add_u32_e32 v240, s60, v240                              // 000000005DE8: 69E1E03C
	v_add_u32_e32 v241, 1, v240                                // 000000005DEC: 69E3E081
	v_add_u32_e32 v242, 2, v240                                // 000000005DF0: 69E5E082
	v_add_u32_e32 v243, 3, v240                                // 000000005DF4: 69E7E083
	v_mov_b32_e32 v64, 0xff800000                              // 000000005DF8: 7E8002FF FF800000
	v_cmp_lt_u32_e64 s[40:41], v240, v65                       // 000000005E00: D0C90028 000283F0
	v_add_u32_e32 v240, 64, v240                               // 000000005E08: 69E1E0C0
	s_nop 0                                                    // 000000005E0C: BF800000
	v_cndmask_b32_e64 v112, v64, v112, s[40:41]                // 000000005E10: D1000070 00A2E140
	v_cmp_lt_u32_e64 s[40:41], v241, v65                       // 000000005E18: D0C90028 000283F1
	v_add_u32_e32 v241, 64, v241                               // 000000005E20: 69E3E2C0
	s_nop 0                                                    // 000000005E24: BF800000
	v_cndmask_b32_e64 v113, v64, v113, s[40:41]                // 000000005E28: D1000071 00A2E340
	v_cmp_lt_u32_e64 s[40:41], v242, v65                       // 000000005E30: D0C90028 000283F2
	v_add_u32_e32 v242, 64, v242                               // 000000005E38: 69E5E4C0
	s_nop 0                                                    // 000000005E3C: BF800000
	v_cndmask_b32_e64 v114, v64, v114, s[40:41]                // 000000005E40: D1000072 00A2E540
	v_cmp_lt_u32_e64 s[40:41], v243, v65                       // 000000005E48: D0C90028 000283F3
	v_add_u32_e32 v243, 64, v243                               // 000000005E50: 69E7E6C0
	s_nop 0                                                    // 000000005E54: BF800000
	v_cndmask_b32_e64 v115, v64, v115, s[40:41]                // 000000005E58: D1000073 00A2E740
	v_cmp_lt_u32_e64 s[40:41], v240, v65                       // 000000005E60: D0C90028 000283F0
	v_add_u32_e32 v240, 64, v240                               // 000000005E68: 69E1E0C0
	s_nop 0                                                    // 000000005E6C: BF800000
	v_cndmask_b32_e64 v116, v64, v116, s[40:41]                // 000000005E70: D1000074 00A2E940
	v_cmp_lt_u32_e64 s[40:41], v241, v65                       // 000000005E78: D0C90028 000283F1
	v_add_u32_e32 v241, 64, v241                               // 000000005E80: 69E3E2C0
	s_nop 0                                                    // 000000005E84: BF800000
	v_cndmask_b32_e64 v117, v64, v117, s[40:41]                // 000000005E88: D1000075 00A2EB40
	v_cmp_lt_u32_e64 s[40:41], v242, v65                       // 000000005E90: D0C90028 000283F2
	v_add_u32_e32 v242, 64, v242                               // 000000005E98: 69E5E4C0
	s_nop 0                                                    // 000000005E9C: BF800000
	v_cndmask_b32_e64 v118, v64, v118, s[40:41]                // 000000005EA0: D1000076 00A2ED40
	v_cmp_lt_u32_e64 s[40:41], v243, v65                       // 000000005EA8: D0C90028 000283F3
	v_add_u32_e32 v243, 64, v243                               // 000000005EB0: 69E7E6C0
	s_nop 0                                                    // 000000005EB4: BF800000
	v_cndmask_b32_e64 v119, v64, v119, s[40:41]                // 000000005EB8: D1000077 00A2EF40
	v_cmp_lt_u32_e64 s[40:41], v240, v65                       // 000000005EC0: D0C90028 000283F0
	v_add_u32_e32 v240, 64, v240                               // 000000005EC8: 69E1E0C0
	s_nop 0                                                    // 000000005ECC: BF800000
	v_cndmask_b32_e64 v120, v64, v120, s[40:41]                // 000000005ED0: D1000078 00A2F140
	v_cmp_lt_u32_e64 s[40:41], v241, v65                       // 000000005ED8: D0C90028 000283F1
	v_add_u32_e32 v241, 64, v241                               // 000000005EE0: 69E3E2C0
	s_nop 0                                                    // 000000005EE4: BF800000
	v_cndmask_b32_e64 v121, v64, v121, s[40:41]                // 000000005EE8: D1000079 00A2F340
	v_cmp_lt_u32_e64 s[40:41], v242, v65                       // 000000005EF0: D0C90028 000283F2
	v_add_u32_e32 v242, 64, v242                               // 000000005EF8: 69E5E4C0
	s_nop 0                                                    // 000000005EFC: BF800000
	v_cndmask_b32_e64 v122, v64, v122, s[40:41]                // 000000005F00: D100007A 00A2F540
	v_cmp_lt_u32_e64 s[40:41], v243, v65                       // 000000005F08: D0C90028 000283F3
	v_add_u32_e32 v243, 64, v243                               // 000000005F10: 69E7E6C0
	s_nop 0                                                    // 000000005F14: BF800000
	v_cndmask_b32_e64 v123, v64, v123, s[40:41]                // 000000005F18: D100007B 00A2F740
	v_cmp_lt_u32_e64 s[40:41], v240, v65                       // 000000005F20: D0C90028 000283F0
	v_add_u32_e32 v240, 64, v240                               // 000000005F28: 69E1E0C0
	s_nop 0                                                    // 000000005F2C: BF800000
	v_cndmask_b32_e64 v124, v64, v124, s[40:41]                // 000000005F30: D100007C 00A2F940
	v_cmp_lt_u32_e64 s[40:41], v241, v65                       // 000000005F38: D0C90028 000283F1
	v_add_u32_e32 v241, 64, v241                               // 000000005F40: 69E3E2C0
	s_nop 0                                                    // 000000005F44: BF800000
	v_cndmask_b32_e64 v125, v64, v125, s[40:41]                // 000000005F48: D100007D 00A2FB40
	v_cmp_lt_u32_e64 s[40:41], v242, v65                       // 000000005F50: D0C90028 000283F2
	v_add_u32_e32 v242, 64, v242                               // 000000005F58: 69E5E4C0
	s_nop 0                                                    // 000000005F5C: BF800000
	v_cndmask_b32_e64 v126, v64, v126, s[40:41]                // 000000005F60: D100007E 00A2FD40
	v_cmp_lt_u32_e64 s[40:41], v243, v65                       // 000000005F68: D0C90028 000283F3
	v_add_u32_e32 v243, 64, v243                               // 000000005F70: 69E7E6C0
	s_nop 0                                                    // 000000005F74: BF800000
	v_cndmask_b32_e64 v127, v64, v127, s[40:41]                // 000000005F78: D100007F 00A2FF40
	v_mov_b32_e32 v48, v112                                    // 000000005F80: 7E600370
	v_max3_f32 v48, v112, v113, v48                            // 000000005F84: D1D30030 04C2E370
	v_max3_f32 v48, v114, v115, v48                            // 000000005F8C: D1D30030 04C2E772
	v_max3_f32 v48, v116, v117, v48                            // 000000005F94: D1D30030 04C2EB74
	v_max3_f32 v48, v118, v119, v48                            // 000000005F9C: D1D30030 04C2EF76
	v_max3_f32 v48, v120, v121, v48                            // 000000005FA4: D1D30030 04C2F378
	v_max3_f32 v48, v122, v123, v48                            // 000000005FAC: D1D30030 04C2F77A
	v_max3_f32 v48, v124, v125, v48                            // 000000005FB4: D1D30030 04C2FB7C
	v_max3_f32 v48, v126, v127, v48                            // 000000005FBC: D1D30030 04C2FF7E
	ds_write_b32 v8, v48 offset:16896                          // 000000005FC4: D81A4200 00003008
	v_mul_u32_u24_dpp v64, v17, v54 row_newbcast:1 row_mask:0xf bank_mask:0xf// 000000005FCC: 10806CFA FF015111
	v_mul_u32_u24_dpp v65, v17, v54 row_newbcast:5 row_mask:0xf bank_mask:0xf// 000000005FD4: 10826CFA FF015511
	v_mul_u32_u24_dpp v66, v17, v54 row_newbcast:9 row_mask:0xf bank_mask:0xf// 000000005FDC: 10846CFA FF015911
	v_mul_u32_u24_dpp v67, v17, v54 row_newbcast:13 row_mask:0xf bank_mask:0xf// 000000005FE4: 10866CFA FF015D11
	v_add_u32_e32 v34, v64, v6                                 // 000000005FEC: 68440D40
	v_add_u32_e32 v35, v65, v6                                 // 000000005FF0: 68460D41
	v_add_u32_e32 v36, v66, v6                                 // 000000005FF4: 68480D42
	v_add_u32_e32 v37, v67, v6                                 // 000000005FF8: 684A0D43
	v_mul_f32_e32 v208, v49, v208                              // 000000005FFC: 0BA1A131
	v_mul_f32_e32 v209, v49, v209                              // 000000006000: 0BA3A331
	v_mul_f32_e32 v210, v49, v210                              // 000000006004: 0BA5A531
	v_mul_f32_e32 v211, v49, v211                              // 000000006008: 0BA7A731
	v_mul_f32_e32 v212, v49, v212                              // 00000000600C: 0BA9A931
	v_mul_f32_e32 v213, v49, v213                              // 000000006010: 0BABAB31
	v_mul_f32_e32 v214, v49, v214                              // 000000006014: 0BADAD31
	v_mul_f32_e32 v215, v49, v215                              // 000000006018: 0BAFAF31
	s_waitcnt lgkmcnt(0)                                       // 00000000601C: BF8CC07F
	s_barrier                                                  // 000000006020: BF8A0000
	ds_read_b32 v64, v7 offset:16896                           // 000000006024: D86C4200 40000007
	ds_read_b32 v65, v7 offset:16960                           // 00000000602C: D86C4240 41000007
	ds_read_b32 v66, v7 offset:17024                           // 000000006034: D86C4280 42000007
	ds_read_b32 v67, v7 offset:17088                           // 00000000603C: D86C42C0 43000007
	ds_read_b32 v68, v7 offset:17152                           // 000000006044: D86C4300 44000007
	ds_read_b32 v69, v7 offset:17216                           // 00000000604C: D86C4340 45000007
	ds_read_b32 v70, v7 offset:17280                           // 000000006054: D86C4380 46000007
	ds_read_b32 v71, v7 offset:17344                           // 00000000605C: D86C43C0 47000007
	ds_read_b32 v72, v7 offset:17408                           // 000000006064: D86C4400 48000007
	ds_read_b32 v73, v7 offset:17472                           // 00000000606C: D86C4440 49000007
	ds_read_b32 v74, v7 offset:17536                           // 000000006074: D86C4480 4A000007
	ds_read_b32 v75, v7 offset:17600                           // 00000000607C: D86C44C0 4B000007
	ds_read_b32 v76, v7 offset:17664                           // 000000006084: D86C4500 4C000007
	ds_read_b32 v77, v7 offset:17728                           // 00000000608C: D86C4540 4D000007
	ds_read_b32 v78, v7 offset:17792                           // 000000006094: D86C4580 4E000007
	ds_read_b32 v79, v7 offset:17856                           // 00000000609C: D86C45C0 4F000007
	v_cvt_f32_i32_e32 v176, v176                               // 0000000060A4: 7F600BB0
	v_cvt_f32_i32_e32 v177, v177                               // 0000000060A8: 7F620BB1
	v_cvt_f32_i32_e32 v178, v178                               // 0000000060AC: 7F640BB2
	v_cvt_f32_i32_e32 v179, v179                               // 0000000060B0: 7F660BB3
	v_cvt_f32_i32_e32 v180, v180                               // 0000000060B4: 7F680BB4
	v_cvt_f32_i32_e32 v181, v181                               // 0000000060B8: 7F6A0BB5
	v_cvt_f32_i32_e32 v182, v182                               // 0000000060BC: 7F6C0BB6
	v_cvt_f32_i32_e32 v183, v183                               // 0000000060C0: 7F6E0BB7
	v_mul_f32_e32 v176, v44, v176                              // 0000000060C4: 0B61612C
	v_mul_f32_e32 v177, v44, v177                              // 0000000060C8: 0B63632C
	v_mul_f32_e32 v178, v44, v178                              // 0000000060CC: 0B65652C
	v_mul_f32_e32 v179, v44, v179                              // 0000000060D0: 0B67672C
	v_mul_f32_e32 v180, v44, v180                              // 0000000060D4: 0B69692C
	v_mul_f32_e32 v181, v44, v181                              // 0000000060D8: 0B6B6B2C
	v_mul_f32_e32 v182, v44, v182                              // 0000000060DC: 0B6D6D2C
	v_mul_f32_e32 v183, v44, v183                              // 0000000060E0: 0B6F6F2C
	s_waitcnt lgkmcnt(0)                                       // 0000000060E4: BF8CC07F
	v_max3_f32 v48, v64, v65, v48                              // 0000000060E8: D1D30030 04C28340
	v_max3_f32 v48, v66, v67, v48                              // 0000000060F0: D1D30030 04C28742
	v_max3_f32 v48, v68, v69, v48                              // 0000000060F8: D1D30030 04C28B44
	v_max3_f32 v48, v70, v71, v48                              // 000000006100: D1D30030 04C28F46
	v_max3_f32 v48, v72, v73, v48                              // 000000006108: D1D30030 04C29348
	v_max3_f32 v48, v74, v75, v48                              // 000000006110: D1D30030 04C2974A
	v_max3_f32 v48, v76, v77, v48                              // 000000006118: D1D30030 04C29B4C
	v_max3_f32 v48, v78, v79, v48                              // 000000006120: D1D30030 04C29F4E
	v_mov_b32_e32 v64, 0xff800000                              // 000000006128: 7E8002FF FF800000
	v_cmp_eq_u32_e64 s[40:41], v64, v11                        // 000000006130: D0CA0028 00021740
	s_nop 1                                                    // 000000006138: BF800001
	v_max_f32_e32 v15, v48, v11                                // 00000000613C: 161E1730
	v_mul_f32_e32 v53, s64, v15                                // 000000006140: 0A6A1E40
	v_fma_f32 v112, v112, s64, -v53                            // 000000006144: D1CB0070 84D48170
	v_fma_f32 v113, v113, s64, -v53                            // 00000000614C: D1CB0071 84D48171
	v_fma_f32 v114, v114, s64, -v53                            // 000000006154: D1CB0072 84D48172
	v_fma_f32 v115, v115, s64, -v53                            // 00000000615C: D1CB0073 84D48173
	v_fma_f32 v116, v116, s64, -v53                            // 000000006164: D1CB0074 84D48174
	v_fma_f32 v117, v117, s64, -v53                            // 00000000616C: D1CB0075 84D48175
	v_fma_f32 v118, v118, s64, -v53                            // 000000006174: D1CB0076 84D48176
	v_fma_f32 v119, v119, s64, -v53                            // 00000000617C: D1CB0077 84D48177
	v_fma_f32 v120, v120, s64, -v53                            // 000000006184: D1CB0078 84D48178
	v_fma_f32 v121, v121, s64, -v53                            // 00000000618C: D1CB0079 84D48179
	v_fma_f32 v122, v122, s64, -v53                            // 000000006194: D1CB007A 84D4817A
	v_fma_f32 v123, v123, s64, -v53                            // 00000000619C: D1CB007B 84D4817B
	v_fma_f32 v124, v124, s64, -v53                            // 0000000061A4: D1CB007C 84D4817C
	v_fma_f32 v125, v125, s64, -v53                            // 0000000061AC: D1CB007D 84D4817D
	v_fma_f32 v126, v126, s64, -v53                            // 0000000061B4: D1CB007E 84D4817E
	v_fma_f32 v127, v127, s64, -v53                            // 0000000061BC: D1CB007F 84D4817F
	v_exp_f32_e32 v112, v112                                   // 0000000061C4: 7EE04170
	v_exp_f32_e32 v113, v113                                   // 0000000061C8: 7EE24171
	v_exp_f32_e32 v114, v114                                   // 0000000061CC: 7EE44172
	v_exp_f32_e32 v115, v115                                   // 0000000061D0: 7EE64173
	v_exp_f32_e32 v116, v116                                   // 0000000061D4: 7EE84174
	v_exp_f32_e32 v117, v117                                   // 0000000061D8: 7EEA4175
	v_exp_f32_e32 v118, v118                                   // 0000000061DC: 7EEC4176
	v_exp_f32_e32 v119, v119                                   // 0000000061E0: 7EEE4177
	v_exp_f32_e32 v120, v120                                   // 0000000061E4: 7EF04178
	v_exp_f32_e32 v121, v121                                   // 0000000061E8: 7EF24179
	v_exp_f32_e32 v122, v122                                   // 0000000061EC: 7EF4417A
	v_exp_f32_e32 v123, v123                                   // 0000000061F0: 7EF6417B
	v_exp_f32_e32 v124, v124                                   // 0000000061F4: 7EF8417C
	v_exp_f32_e32 v125, v125                                   // 0000000061F8: 7EFA417D
	v_exp_f32_e32 v126, v126                                   // 0000000061FC: 7EFC417E
	v_exp_f32_e32 v127, v127                                   // 000000006200: 7EFE417F
	v_mul_f32_dpp v240, v252, v112 quad_perm:[0,0,0,0] row_mask:0xf bank_mask:0xf// 000000006204: 0BE0E0FA FF0000FC
	v_mul_f32_dpp v241, v252, v113 quad_perm:[1,1,1,1] row_mask:0xf bank_mask:0xf// 00000000620C: 0BE2E2FA FF0055FC
	v_mul_f32_dpp v242, v252, v114 quad_perm:[2,2,2,2] row_mask:0xf bank_mask:0xf// 000000006214: 0BE4E4FA FF00AAFC
	v_mul_f32_dpp v243, v252, v115 quad_perm:[3,3,3,3] row_mask:0xf bank_mask:0xf// 00000000621C: 0BE6E6FA FF00FFFC
	v_mul_f32_dpp v244, v253, v116 quad_perm:[0,0,0,0] row_mask:0xf bank_mask:0xf// 000000006224: 0BE8E8FA FF0000FD
	v_mul_f32_dpp v245, v253, v117 quad_perm:[1,1,1,1] row_mask:0xf bank_mask:0xf// 00000000622C: 0BEAEAFA FF0055FD
	v_mul_f32_dpp v246, v253, v118 quad_perm:[2,2,2,2] row_mask:0xf bank_mask:0xf// 000000006234: 0BECECFA FF00AAFD
	v_mul_f32_dpp v247, v253, v119 quad_perm:[3,3,3,3] row_mask:0xf bank_mask:0xf// 00000000623C: 0BEEEEFA FF00FFFD
	v_mul_f32_dpp v248, v254, v120 quad_perm:[0,0,0,0] row_mask:0xf bank_mask:0xf// 000000006244: 0BF0F0FA FF0000FE
	v_mul_f32_dpp v249, v254, v121 quad_perm:[1,1,1,1] row_mask:0xf bank_mask:0xf// 00000000624C: 0BF2F2FA FF0055FE
	v_mul_f32_dpp v250, v254, v122 quad_perm:[2,2,2,2] row_mask:0xf bank_mask:0xf// 000000006254: 0BF4F4FA FF00AAFE
	v_mul_f32_dpp v251, v254, v123 quad_perm:[3,3,3,3] row_mask:0xf bank_mask:0xf// 00000000625C: 0BF6F6FA FF00FFFE
	v_mul_f32_dpp v252, v255, v124 quad_perm:[0,0,0,0] row_mask:0xf bank_mask:0xf// 000000006264: 0BF8F8FA FF0000FF
	v_mul_f32_dpp v253, v255, v125 quad_perm:[1,1,1,1] row_mask:0xf bank_mask:0xf// 00000000626C: 0BFAFAFA FF0055FF
	v_mul_f32_dpp v254, v255, v126 quad_perm:[2,2,2,2] row_mask:0xf bank_mask:0xf// 000000006274: 0BFCFCFA FF00AAFF
	v_mul_f32_dpp v255, v255, v127 quad_perm:[3,3,3,3] row_mask:0xf bank_mask:0xf// 00000000627C: 0BFEFEFA FF00FFFF
	v_mov_b32_e32 v48, 0x358637bd                              // 000000006284: 7E6002FF 358637BD
	v_max3_f32 v48, |v240|, |v241|, v48                        // 00000000628C: D1D30330 04C3E3F0
	v_max3_f32 v48, |v242|, |v243|, v48                        // 000000006294: D1D30330 04C3E7F2
	v_max3_f32 v48, |v244|, |v245|, v48                        // 00000000629C: D1D30330 04C3EBF4
	v_max3_f32 v48, |v246|, |v247|, v48                        // 0000000062A4: D1D30330 04C3EFF6
	v_max3_f32 v48, |v248|, |v249|, v48                        // 0000000062AC: D1D30330 04C3F3F8
	v_max3_f32 v48, |v250|, |v251|, v48                        // 0000000062B4: D1D30330 04C3F7FA
	v_max3_f32 v48, |v252|, |v253|, v48                        // 0000000062BC: D1D30330 04C3FBFC
	v_max3_f32 v48, |v254|, |v255|, v48                        // 0000000062C4: D1D30330 04C3FFFE
	ds_write_b32 v8, v48 offset:20992                          // 0000000062CC: D81A5200 00003008
	v_sub_f32_e32 v49, v11, v15                                // 0000000062D4: 04621F0B
	v_cndmask_b32_e64 v49, v49, 0, s[40:41]                    // 0000000062D8: D1000031 00A10131
	v_mov_b32_e32 v11, v15                                     // 0000000062E0: 7E16030F
	v_mul_f32_e32 v49, s64, v49                                // 0000000062E4: 0A626240
	v_exp_f32_e32 v49, v49                                     // 0000000062E8: 7E624131
	s_waitcnt lgkmcnt(0)                                       // 0000000062EC: BF8CC07F
	s_barrier                                                  // 0000000062F0: BF8A0000
	ds_read_b32 v64, v7 offset:20992                           // 0000000062F4: D86C5200 40000007
	ds_read_b32 v65, v7 offset:21056                           // 0000000062FC: D86C5240 41000007
	ds_read_b32 v66, v7 offset:21120                           // 000000006304: D86C5280 42000007
	ds_read_b32 v67, v7 offset:21184                           // 00000000630C: D86C52C0 43000007
	ds_read_b32 v68, v7 offset:21248                           // 000000006314: D86C5300 44000007
	ds_read_b32 v69, v7 offset:21312                           // 00000000631C: D86C5340 45000007
	ds_read_b32 v70, v7 offset:21376                           // 000000006324: D86C5380 46000007
	ds_read_b32 v71, v7 offset:21440                           // 00000000632C: D86C53C0 47000007
	ds_read_b32 v72, v7 offset:21504                           // 000000006334: D86C5400 48000007
	ds_read_b32 v73, v7 offset:21568                           // 00000000633C: D86C5440 49000007
	ds_read_b32 v74, v7 offset:21632                           // 000000006344: D86C5480 4A000007
	ds_read_b32 v75, v7 offset:21696                           // 00000000634C: D86C54C0 4B000007
	ds_read_b32 v76, v7 offset:21760                           // 000000006354: D86C5500 4C000007
	ds_read_b32 v77, v7 offset:21824                           // 00000000635C: D86C5540 4D000007
	ds_read_b32 v78, v7 offset:21888                           // 000000006364: D86C5580 4E000007
	ds_read_b32 v79, v7 offset:21952                           // 00000000636C: D86C55C0 4F000007
	v_mul_f32_e32 v38, v49, v38                                // 000000006374: 0A4C4D31
	v_mov_b32_e32 v15, v112                                    // 000000006378: 7E1E0370
	v_add_f32_e32 v15, v113, v15                               // 00000000637C: 021E1F71
	v_add_f32_e32 v15, v114, v15                               // 000000006380: 021E1F72
	v_add_f32_e32 v15, v115, v15                               // 000000006384: 021E1F73
	v_add_f32_e32 v15, v116, v15                               // 000000006388: 021E1F74
	v_add_f32_e32 v15, v117, v15                               // 00000000638C: 021E1F75
	v_add_f32_e32 v15, v118, v15                               // 000000006390: 021E1F76
	v_add_f32_e32 v15, v119, v15                               // 000000006394: 021E1F77
	v_add_f32_e32 v15, v120, v15                               // 000000006398: 021E1F78
	v_add_f32_e32 v15, v121, v15                               // 00000000639C: 021E1F79
	v_add_f32_e32 v15, v122, v15                               // 0000000063A0: 021E1F7A
	v_add_f32_e32 v15, v123, v15                               // 0000000063A4: 021E1F7B
	v_add_f32_e32 v15, v124, v15                               // 0000000063A8: 021E1F7C
	v_add_f32_e32 v15, v125, v15                               // 0000000063AC: 021E1F7D
	v_add_f32_e32 v15, v126, v15                               // 0000000063B0: 021E1F7E
	v_add_f32_e32 v15, v127, v15                               // 0000000063B4: 021E1F7F
	v_add_f32_e32 v38, v15, v38                                // 0000000063B8: 024C4D0F
	s_waitcnt lgkmcnt(0)                                       // 0000000063BC: BF8CC07F
	v_max3_f32 v48, |v64|, |v65|, v48                          // 0000000063C0: D1D30330 04C28340
	v_max3_f32 v48, |v66|, |v67|, v48                          // 0000000063C8: D1D30330 04C28742
	v_max3_f32 v48, |v68|, |v69|, v48                          // 0000000063D0: D1D30330 04C28B44
	v_max3_f32 v48, |v70|, |v71|, v48                          // 0000000063D8: D1D30330 04C28F46
	v_max3_f32 v48, |v72|, |v73|, v48                          // 0000000063E0: D1D30330 04C29348
	v_max3_f32 v48, |v74|, |v75|, v48                          // 0000000063E8: D1D30330 04C2974A
	v_max3_f32 v48, |v76|, |v77|, v48                          // 0000000063F0: D1D30330 04C29B4C
	v_max3_f32 v48, |v78|, |v79|, v48                          // 0000000063F8: D1D30330 04C29F4E
	s_nop 2                                                    // 000000006400: BF800002
	v_rcp_f32_e32 v48, v48                                     // 000000006404: 7E604530
	s_nop 1                                                    // 000000006408: BF800001
	v_mul_f32_e32 v48, 0x42fe0000, v48                         // 00000000640C: 0A6060FF 42FE0000
	v_mul_f32_e32 v112, v48, v240                              // 000000006414: 0AE1E130
	v_mul_f32_e32 v113, v48, v241                              // 000000006418: 0AE3E330
	v_mul_f32_e32 v114, v48, v242                              // 00000000641C: 0AE5E530
	v_mul_f32_e32 v115, v48, v243                              // 000000006420: 0AE7E730
	v_mul_f32_e32 v116, v48, v244                              // 000000006424: 0AE9E930
	v_mul_f32_e32 v117, v48, v245                              // 000000006428: 0AEBEB30
	v_mul_f32_e32 v118, v48, v246                              // 00000000642C: 0AEDED30
	v_mul_f32_e32 v119, v48, v247                              // 000000006430: 0AEFEF30
	v_mul_f32_e32 v120, v48, v248                              // 000000006434: 0AF1F130
	v_mul_f32_e32 v121, v48, v249                              // 000000006438: 0AF3F330
	v_mul_f32_e32 v122, v48, v250                              // 00000000643C: 0AF5F530
	v_mul_f32_e32 v123, v48, v251                              // 000000006440: 0AF7F730
	v_mul_f32_e32 v124, v48, v252                              // 000000006444: 0AF9F930
	v_mul_f32_e32 v125, v48, v253                              // 000000006448: 0AFBFB30
	v_mul_f32_e32 v126, v48, v254                              // 00000000644C: 0AFDFD30
	v_mul_f32_e32 v127, v48, v255                              // 000000006450: 0AFFFF30
	v_cvt_i32_f32_e32 v112, v112                               // 000000006454: 7EE01170
	v_cvt_i32_f32_e32 v113, v113                               // 000000006458: 7EE21171
	v_cvt_i32_f32_e32 v114, v114                               // 00000000645C: 7EE41172
	v_cvt_i32_f32_e32 v115, v115                               // 000000006460: 7EE61173
	v_cvt_i32_f32_e32 v116, v116                               // 000000006464: 7EE81174
	v_cvt_i32_f32_e32 v117, v117                               // 000000006468: 7EEA1175
	v_cvt_i32_f32_e32 v118, v118                               // 00000000646C: 7EEC1176
	v_cvt_i32_f32_e32 v119, v119                               // 000000006470: 7EEE1177
	v_cvt_i32_f32_e32 v120, v120                               // 000000006474: 7EF01178
	v_cvt_i32_f32_e32 v121, v121                               // 000000006478: 7EF21179
	v_cvt_i32_f32_e32 v122, v122                               // 00000000647C: 7EF4117A
	v_cvt_i32_f32_e32 v123, v123                               // 000000006480: 7EF6117B
	v_cvt_i32_f32_e32 v124, v124                               // 000000006484: 7EF8117C
	v_cvt_i32_f32_e32 v125, v125                               // 000000006488: 7EFA117D
	v_cvt_i32_f32_e32 v126, v126                               // 00000000648C: 7EFC117E
	v_cvt_i32_f32_e32 v127, v127                               // 000000006490: 7EFE117F
	v_perm_b32 v112, v113, v112, s53                           // 000000006494: D1ED0070 00D6E171
	v_perm_b32 v112, v114, v112, s54                           // 00000000649C: D1ED0070 00DAE172
	v_perm_b32 v112, v115, v112, s55                           // 0000000064A4: D1ED0070 00DEE173
	v_perm_b32 v113, v117, v116, s53                           // 0000000064AC: D1ED0071 00D6E975
	v_perm_b32 v113, v118, v113, s54                           // 0000000064B4: D1ED0071 00DAE376
	v_perm_b32 v113, v119, v113, s55                           // 0000000064BC: D1ED0071 00DEE377
	v_perm_b32 v114, v121, v120, s53                           // 0000000064C4: D1ED0072 00D6F179
	v_perm_b32 v114, v122, v114, s54                           // 0000000064CC: D1ED0072 00DAE57A
	v_perm_b32 v114, v123, v114, s55                           // 0000000064D4: D1ED0072 00DEE57B
	v_perm_b32 v115, v125, v124, s53                           // 0000000064DC: D1ED0073 00D6F97D
	v_perm_b32 v115, v126, v115, s54                           // 0000000064E4: D1ED0073 00DAE77E
	v_perm_b32 v115, v127, v115, s55                           // 0000000064EC: D1ED0073 00DEE77F
	ds_write_b32 v10, v112 offset:25088                        // 0000000064F4: D81A6200 0000700A
	ds_write_b32 v10, v113 offset:26112                        // 0000000064FC: D81A6600 0000710A
	ds_write_b32 v10, v114 offset:27136                        // 000000006504: D81A6A00 0000720A
	ds_write_b32 v10, v115 offset:28160                        // 00000000650C: D81A6E00 0000730A
	v_add_f32_e32 v208, v208, v176                             // 000000006514: 03A161D0
	v_add_f32_e32 v209, v209, v177                             // 000000006518: 03A363D1
	v_add_f32_e32 v210, v210, v178                             // 00000000651C: 03A565D2
	v_add_f32_e32 v211, v211, v179                             // 000000006520: 03A767D3
	v_add_f32_e32 v212, v212, v180                             // 000000006524: 03A969D4
	v_add_f32_e32 v213, v213, v181                             // 000000006528: 03AB6BD5
	v_add_f32_e32 v214, v214, v182                             // 00000000652C: 03AD6DD6
	v_add_f32_e32 v215, v215, v183                             // 000000006530: 03AF6FD7
	v_rcp_f32_e32 v44, v48                                     // 000000006534: 7E584530
	s_waitcnt lgkmcnt(0)                                       // 000000006538: BF8CC07F
	s_barrier                                                  // 00000000653C: BF8A0000
	ds_read_b64 v[112:113], v9 offset:25088                    // 000000006540: D8EC6200 70000009
	ds_read_b64 v[114:115], v9 offset:25216                    // 000000006548: D8EC6280 72000009
	ds_read_b64 v[116:117], v9 offset:26112                    // 000000006550: D8EC6600 74000009
	ds_read_b64 v[118:119], v9 offset:26240                    // 000000006558: D8EC6680 76000009
	ds_read_b64 v[120:121], v9 offset:27136                    // 000000006560: D8EC6A00 78000009
	ds_read_b64 v[122:123], v9 offset:27264                    // 000000006568: D8EC6A80 7A000009
	ds_read_b64 v[124:125], v9 offset:28160                    // 000000006570: D8EC6E00 7C000009
	ds_read_b64 v[126:127], v9 offset:28288                    // 000000006578: D8EC6E80 7E000009
	s_waitcnt vmcnt(0)                                         // 000000006580: BF8C0F70
	s_barrier                                                  // 000000006584: BF8A0000
	s_waitcnt lgkmcnt(7)                                       // 000000006588: BF8CC77F
	v_mfma_i32_16x16x32_i8 v[176:179], a[64:65], v[112:113], 0 // 00000000658C: D3D700B0 0A02E140
	s_waitcnt lgkmcnt(6)                                       // 000000006594: BF8CC67F
	v_mfma_i32_16x16x32_i8 v[176:179], a[66:67], v[114:115], v[176:179]// 000000006598: D3D700B0 0EC2E542
	s_waitcnt lgkmcnt(5)                                       // 0000000065A0: BF8CC57F
	v_mfma_i32_16x16x32_i8 v[176:179], a[68:69], v[116:117], v[176:179]// 0000000065A4: D3D700B0 0EC2E944
	s_waitcnt lgkmcnt(4)                                       // 0000000065AC: BF8CC47F
	v_mfma_i32_16x16x32_i8 v[176:179], a[70:71], v[118:119], v[176:179]// 0000000065B0: D3D700B0 0EC2ED46
	s_waitcnt lgkmcnt(3)                                       // 0000000065B8: BF8CC37F
	v_mfma_i32_16x16x32_i8 v[176:179], a[72:73], v[120:121], v[176:179]// 0000000065BC: D3D700B0 0EC2F148
	s_waitcnt lgkmcnt(2)                                       // 0000000065C4: BF8CC27F
	v_mfma_i32_16x16x32_i8 v[176:179], a[74:75], v[122:123], v[176:179]// 0000000065C8: D3D700B0 0EC2F54A
	s_waitcnt lgkmcnt(1)                                       // 0000000065D0: BF8CC17F
	v_mfma_i32_16x16x32_i8 v[176:179], a[76:77], v[124:125], v[176:179]// 0000000065D4: D3D700B0 0EC2F94C
	s_waitcnt lgkmcnt(0)                                       // 0000000065DC: BF8CC07F
	v_mfma_i32_16x16x32_i8 v[176:179], a[78:79], v[126:127], v[176:179]// 0000000065E0: D3D700B0 0EC2FD4E
	v_mfma_i32_16x16x32_i8 v[180:183], a[80:81], v[112:113], 0 // 0000000065E8: D3D700B4 0A02E150
	v_mfma_i32_16x16x32_i8 v[180:183], a[82:83], v[114:115], v[180:183]// 0000000065F0: D3D700B4 0ED2E552
	v_mfma_i32_16x16x32_i8 v[180:183], a[84:85], v[116:117], v[180:183]// 0000000065F8: D3D700B4 0ED2E954
	v_mfma_i32_16x16x32_i8 v[180:183], a[86:87], v[118:119], v[180:183]// 000000006600: D3D700B4 0ED2ED56
	v_mfma_i32_16x16x32_i8 v[180:183], a[88:89], v[120:121], v[180:183]// 000000006608: D3D700B4 0ED2F158
	v_mfma_i32_16x16x32_i8 v[180:183], a[90:91], v[122:123], v[180:183]// 000000006610: D3D700B4 0ED2F55A
	v_mfma_i32_16x16x32_i8 v[180:183], a[92:93], v[124:125], v[180:183]// 000000006618: D3D700B4 0ED2F95C
	v_mfma_i32_16x16x32_i8 v[180:183], a[94:95], v[126:127], v[180:183]// 000000006620: D3D700B4 0ED2FD5E
	s_nop 4                                                    // 000000006628: BF800004
	s_branch label_142E                                        // 00000000662C: BF820322

0000000000006630 <label_110C>:
	s_waitcnt vmcnt(8) lgkmcnt(0)                              // 000000006630: BF8C0078
	s_barrier                                                  // 000000006634: BF8A0000
	v_mfma_i32_16x16x32_i8 v[112:115], a[32:33], v[80:81], 0   // 000000006638: D3D70070 0A02A120
	v_mfma_i32_16x16x32_i8 v[112:115], a[34:35], v[82:83], v[112:115]// 000000006640: D3D70070 0DC2A522
	v_mfma_i32_16x16x32_i8 v[112:115], a[36:37], v[84:85], v[112:115]// 000000006648: D3D70070 0DC2A924
	v_mfma_i32_16x16x32_i8 v[112:115], a[38:39], v[86:87], v[112:115]// 000000006650: D3D70070 0DC2AD26
	v_mfma_i32_16x16x32_i8 v[116:119], a[40:41], v[80:81], 0   // 000000006658: D3D70074 0A02A128
	v_mfma_i32_16x16x32_i8 v[116:119], a[42:43], v[82:83], v[116:119]// 000000006660: D3D70074 0DD2A52A
	v_mfma_i32_16x16x32_i8 v[116:119], a[44:45], v[84:85], v[116:119]// 000000006668: D3D70074 0DD2A92C
	v_mfma_i32_16x16x32_i8 v[116:119], a[46:47], v[86:87], v[116:119]// 000000006670: D3D70074 0DD2AD2E
	v_mfma_i32_16x16x32_i8 v[120:123], a[48:49], v[80:81], 0   // 000000006678: D3D70078 0A02A130
	v_mfma_i32_16x16x32_i8 v[120:123], a[50:51], v[82:83], v[120:123]// 000000006680: D3D70078 0DE2A532
	v_mfma_i32_16x16x32_i8 v[120:123], a[52:53], v[84:85], v[120:123]// 000000006688: D3D70078 0DE2A934
	v_mfma_i32_16x16x32_i8 v[120:123], a[54:55], v[86:87], v[120:123]// 000000006690: D3D70078 0DE2AD36
	v_mfma_i32_16x16x32_i8 v[124:127], a[56:57], v[80:81], 0   // 000000006698: D3D7007C 0A02A138
	v_mfma_i32_16x16x32_i8 v[124:127], a[58:59], v[82:83], v[124:127]// 0000000066A0: D3D7007C 0DF2A53A
	v_mfma_i32_16x16x32_i8 v[124:127], a[60:61], v[84:85], v[124:127]// 0000000066A8: D3D7007C 0DF2A93C
	v_mfma_i32_16x16x32_i8 v[124:127], a[62:63], v[86:87], v[124:127]// 0000000066B0: D3D7007C 0DF2AD3E
	v_mov_b32_dpp v64, v43 row_shr:4 row_mask:0xf bank_mask:0xf// 0000000066B8: 7E8002FA FF01142B
	v_mov_b32_dpp v65, v43 row_shl:4 row_mask:0xf bank_mask:0xf// 0000000066C0: 7E8202FA FF01042B
	v_cndmask_b32_e64 v248, v43, v64, s[44:45]                 // 0000000066C8: D10000F8 00B2812B
	v_cndmask_b32_e64 v249, v65, v43, s[44:45]                 // 0000000066D0: D10000F9 00B25741
	v_mov_b32_dpp v64, v248 row_shr:8 row_mask:0xf bank_mask:0xf// 0000000066D8: 7E8002FA FF0118F8
	v_mov_b32_dpp v65, v248 row_shl:8 row_mask:0xf bank_mask:0xf// 0000000066E0: 7E8202FA FF0108F8
	v_mov_b32_dpp v66, v249 row_shr:8 row_mask:0xf bank_mask:0xf// 0000000066E8: 7E8402FA FF0118F9
	v_mov_b32_dpp v67, v249 row_shl:8 row_mask:0xf bank_mask:0xf// 0000000066F0: 7E8602FA FF0108F9
	v_mov_b32_e32 v68, v248                                    // 0000000066F8: 7E8803F8
	v_mov_b32_e32 v69, v249                                    // 0000000066FC: 7E8A03F9
	v_cndmask_b32_e64 v248, v68, v64, s[42:43]                 // 000000006700: D10000F8 00AA8144
	v_cndmask_b32_e64 v250, v68, v65, s[78:79]                 // 000000006708: D10000FA 013A8344
	v_cndmask_b32_e64 v249, v69, v66, s[42:43]                 // 000000006710: D10000F9 00AA8545
	v_cndmask_b32_e64 v251, v69, v67, s[78:79]                 // 000000006718: D10000FB 013A8745
	v_mov_b32_dpp v64, v58 row_shr:4 row_mask:0xf bank_mask:0xf// 000000006720: 7E8002FA FF01143A
	v_mov_b32_dpp v65, v58 row_shl:4 row_mask:0xf bank_mask:0xf// 000000006728: 7E8202FA FF01043A
	v_cndmask_b32_e64 v252, v58, v64, s[44:45]                 // 000000006730: D10000FC 00B2813A
	v_cndmask_b32_e64 v253, v65, v58, s[44:45]                 // 000000006738: D10000FD 00B27541
	v_mov_b32_dpp v64, v252 row_shr:8 row_mask:0xf bank_mask:0xf// 000000006740: 7E8002FA FF0118FC
	v_mov_b32_dpp v65, v252 row_shl:8 row_mask:0xf bank_mask:0xf// 000000006748: 7E8202FA FF0108FC
	v_mov_b32_dpp v66, v253 row_shr:8 row_mask:0xf bank_mask:0xf// 000000006750: 7E8402FA FF0118FD
	v_mov_b32_dpp v67, v253 row_shl:8 row_mask:0xf bank_mask:0xf// 000000006758: 7E8602FA FF0108FD
	v_mov_b32_e32 v68, v252                                    // 000000006760: 7E8803FC
	v_mov_b32_e32 v69, v253                                    // 000000006764: 7E8A03FD
	v_cndmask_b32_e64 v252, v68, v64, s[42:43]                 // 000000006768: D10000FC 00AA8144
	v_cndmask_b32_e64 v254, v68, v65, s[78:79]                 // 000000006770: D10000FE 013A8344
	v_cndmask_b32_e64 v253, v69, v66, s[42:43]                 // 000000006778: D10000FD 00AA8545
	v_cndmask_b32_e64 v255, v69, v67, s[78:79]                 // 000000006780: D10000FF 013A8745
	v_cvt_f32_i32_e32 v112, v112                               // 000000006788: 7EE00B70
	v_cvt_f32_i32_e32 v113, v113                               // 00000000678C: 7EE20B71
	v_cvt_f32_i32_e32 v114, v114                               // 000000006790: 7EE40B72
	v_cvt_f32_i32_e32 v115, v115                               // 000000006794: 7EE60B73
	v_cvt_f32_i32_e32 v116, v116                               // 000000006798: 7EE80B74
	v_cvt_f32_i32_e32 v117, v117                               // 00000000679C: 7EEA0B75
	v_cvt_f32_i32_e32 v118, v118                               // 0000000067A0: 7EEC0B76
	v_cvt_f32_i32_e32 v119, v119                               // 0000000067A4: 7EEE0B77
	v_cvt_f32_i32_e32 v120, v120                               // 0000000067A8: 7EF00B78
	v_cvt_f32_i32_e32 v121, v121                               // 0000000067AC: 7EF20B79
	v_cvt_f32_i32_e32 v122, v122                               // 0000000067B0: 7EF40B7A
	v_cvt_f32_i32_e32 v123, v123                               // 0000000067B4: 7EF60B7B
	v_cvt_f32_i32_e32 v124, v124                               // 0000000067B8: 7EF80B7C
	v_cvt_f32_i32_e32 v125, v125                               // 0000000067BC: 7EFA0B7D
	v_cvt_f32_i32_e32 v126, v126                               // 0000000067C0: 7EFC0B7E
	v_cvt_f32_i32_e32 v127, v127                               // 0000000067C4: 7EFE0B7F
	v_mul_f32_e32 v112, v18, v112                              // 0000000067C8: 0AE0E112
	v_mul_f32_e32 v113, v18, v113                              // 0000000067CC: 0AE2E312
	v_mul_f32_e32 v114, v18, v114                              // 0000000067D0: 0AE4E512
	v_mul_f32_e32 v115, v18, v115                              // 0000000067D4: 0AE6E712
	v_mul_f32_e32 v116, v18, v116                              // 0000000067D8: 0AE8E912
	v_mul_f32_e32 v117, v18, v117                              // 0000000067DC: 0AEAEB12
	v_mul_f32_e32 v118, v18, v118                              // 0000000067E0: 0AECED12
	v_mul_f32_e32 v119, v18, v119                              // 0000000067E4: 0AEEEF12
	v_mul_f32_e32 v120, v18, v120                              // 0000000067E8: 0AF0F112
	v_mul_f32_e32 v121, v18, v121                              // 0000000067EC: 0AF2F312
	v_mul_f32_e32 v122, v18, v122                              // 0000000067F0: 0AF4F512
	v_mul_f32_e32 v123, v18, v123                              // 0000000067F4: 0AF6F712
	v_mul_f32_e32 v124, v18, v124                              // 0000000067F8: 0AF8F912
	v_mul_f32_e32 v125, v18, v125                              // 0000000067FC: 0AFAFB12
	v_mul_f32_e32 v126, v18, v126                              // 000000006800: 0AFCFD12
	v_mul_f32_e32 v127, v18, v127                              // 000000006804: 0AFEFF12
	v_mul_f32_dpp v112, v248, v112 quad_perm:[0,0,0,0] row_mask:0xf bank_mask:0xf// 000000006808: 0AE0E0FA FF0000F8
	v_mul_f32_dpp v113, v248, v113 quad_perm:[1,1,1,1] row_mask:0xf bank_mask:0xf// 000000006810: 0AE2E2FA FF0055F8
	v_mul_f32_dpp v114, v248, v114 quad_perm:[2,2,2,2] row_mask:0xf bank_mask:0xf// 000000006818: 0AE4E4FA FF00AAF8
	v_mul_f32_dpp v115, v248, v115 quad_perm:[3,3,3,3] row_mask:0xf bank_mask:0xf// 000000006820: 0AE6E6FA FF00FFF8
	v_mul_f32_dpp v116, v249, v116 quad_perm:[0,0,0,0] row_mask:0xf bank_mask:0xf// 000000006828: 0AE8E8FA FF0000F9
	v_mul_f32_dpp v117, v249, v117 quad_perm:[1,1,1,1] row_mask:0xf bank_mask:0xf// 000000006830: 0AEAEAFA FF0055F9
	v_mul_f32_dpp v118, v249, v118 quad_perm:[2,2,2,2] row_mask:0xf bank_mask:0xf// 000000006838: 0AECECFA FF00AAF9
	v_mul_f32_dpp v119, v249, v119 quad_perm:[3,3,3,3] row_mask:0xf bank_mask:0xf// 000000006840: 0AEEEEFA FF00FFF9
	v_mul_f32_dpp v120, v250, v120 quad_perm:[0,0,0,0] row_mask:0xf bank_mask:0xf// 000000006848: 0AF0F0FA FF0000FA
	v_mul_f32_dpp v121, v250, v121 quad_perm:[1,1,1,1] row_mask:0xf bank_mask:0xf// 000000006850: 0AF2F2FA FF0055FA
	v_mul_f32_dpp v122, v250, v122 quad_perm:[2,2,2,2] row_mask:0xf bank_mask:0xf// 000000006858: 0AF4F4FA FF00AAFA
	v_mul_f32_dpp v123, v250, v123 quad_perm:[3,3,3,3] row_mask:0xf bank_mask:0xf// 000000006860: 0AF6F6FA FF00FFFA
	v_mul_f32_dpp v124, v251, v124 quad_perm:[0,0,0,0] row_mask:0xf bank_mask:0xf// 000000006868: 0AF8F8FA FF0000FB
	v_mul_f32_dpp v125, v251, v125 quad_perm:[1,1,1,1] row_mask:0xf bank_mask:0xf// 000000006870: 0AFAFAFA FF0055FB
	v_mul_f32_dpp v126, v251, v126 quad_perm:[2,2,2,2] row_mask:0xf bank_mask:0xf// 000000006878: 0AFCFCFA FF00AAFB
	v_mul_f32_dpp v127, v251, v127 quad_perm:[3,3,3,3] row_mask:0xf bank_mask:0xf// 000000006880: 0AFEFEFA FF00FFFB
	s_cmp_le_i32 s90, s89                                      // 000000006888: BF05595A
	s_cbranch_scc1 label_1215                                  // 00000000688C: BF850071
	v_mov_b32_e32 v66, 0xff800000                              // 000000006890: 7E8402FF FF800000
	s_mov_b32 s60, s90                                         // 000000006898: BEBC005A
	s_add_u32 s61, s89, 0xff                                   // 00000000689C: 803DFF59 000000FF
	v_mov_b32_e32 v64, s61                                     // 0000000068A4: 7E80023D
	v_lshrrev_b32_e32 v240, 4, v0                              // 0000000068A8: 21E00084
	v_mul_i32_i24_e32 v240, 4, v240                            // 0000000068AC: 0DE1E084
	v_add_u32_e32 v240, s60, v240                              // 0000000068B0: 69E1E03C
	s_mov_b32 s61, 0                                           // 0000000068B4: BEBD0080
	s_mul_i32 s60, 16, s7                                      // 0000000068B8: 923C0790
	v_sub_u32_e64 v240, v240, s61                              // 0000000068BC: D13500F0 00007BF0
	v_add_u32_e32 v240, s60, v240                              // 0000000068C4: 69E1E03C
	v_add_u32_e32 v241, 1, v240                                // 0000000068C8: 69E3E081
	v_add_u32_e32 v242, 2, v240                                // 0000000068CC: 69E5E082
	v_add_u32_e32 v243, 3, v240                                // 0000000068D0: 69E7E083
	v_cmp_le_u32_e64 s[40:41], v240, v64                       // 0000000068D4: D0CB0028 000281F0
	v_add_u32_e32 v240, 64, v240                               // 0000000068DC: 69E1E0C0
	s_nop 0                                                    // 0000000068E0: BF800000
	v_cndmask_b32_e64 v112, v66, v112, s[40:41]                // 0000000068E4: D1000070 00A2E142
	v_cmp_le_u32_e64 s[40:41], v241, v64                       // 0000000068EC: D0CB0028 000281F1
	v_add_u32_e32 v241, 64, v241                               // 0000000068F4: 69E3E2C0
	s_nop 0                                                    // 0000000068F8: BF800000
	v_cndmask_b32_e64 v113, v66, v113, s[40:41]                // 0000000068FC: D1000071 00A2E342
	v_cmp_le_u32_e64 s[40:41], v242, v64                       // 000000006904: D0CB0028 000281F2
	v_add_u32_e32 v242, 64, v242                               // 00000000690C: 69E5E4C0
	s_nop 0                                                    // 000000006910: BF800000
	v_cndmask_b32_e64 v114, v66, v114, s[40:41]                // 000000006914: D1000072 00A2E542
	v_cmp_le_u32_e64 s[40:41], v243, v64                       // 00000000691C: D0CB0028 000281F3
	v_add_u32_e32 v243, 64, v243                               // 000000006924: 69E7E6C0
	s_nop 0                                                    // 000000006928: BF800000
	v_cndmask_b32_e64 v115, v66, v115, s[40:41]                // 00000000692C: D1000073 00A2E742
	v_cmp_le_u32_e64 s[40:41], v240, v64                       // 000000006934: D0CB0028 000281F0
	v_add_u32_e32 v240, 64, v240                               // 00000000693C: 69E1E0C0
	s_nop 0                                                    // 000000006940: BF800000
	v_cndmask_b32_e64 v116, v66, v116, s[40:41]                // 000000006944: D1000074 00A2E942
	v_cmp_le_u32_e64 s[40:41], v241, v64                       // 00000000694C: D0CB0028 000281F1
	v_add_u32_e32 v241, 64, v241                               // 000000006954: 69E3E2C0
	s_nop 0                                                    // 000000006958: BF800000
	v_cndmask_b32_e64 v117, v66, v117, s[40:41]                // 00000000695C: D1000075 00A2EB42
	v_cmp_le_u32_e64 s[40:41], v242, v64                       // 000000006964: D0CB0028 000281F2
	v_add_u32_e32 v242, 64, v242                               // 00000000696C: 69E5E4C0
	s_nop 0                                                    // 000000006970: BF800000
	v_cndmask_b32_e64 v118, v66, v118, s[40:41]                // 000000006974: D1000076 00A2ED42
	v_cmp_le_u32_e64 s[40:41], v243, v64                       // 00000000697C: D0CB0028 000281F3
	v_add_u32_e32 v243, 64, v243                               // 000000006984: 69E7E6C0
	s_nop 0                                                    // 000000006988: BF800000
	v_cndmask_b32_e64 v119, v66, v119, s[40:41]                // 00000000698C: D1000077 00A2EF42
	v_cmp_le_u32_e64 s[40:41], v240, v64                       // 000000006994: D0CB0028 000281F0
	v_add_u32_e32 v240, 64, v240                               // 00000000699C: 69E1E0C0
	s_nop 0                                                    // 0000000069A0: BF800000
	v_cndmask_b32_e64 v120, v66, v120, s[40:41]                // 0000000069A4: D1000078 00A2F142
	v_cmp_le_u32_e64 s[40:41], v241, v64                       // 0000000069AC: D0CB0028 000281F1
	v_add_u32_e32 v241, 64, v241                               // 0000000069B4: 69E3E2C0
	s_nop 0                                                    // 0000000069B8: BF800000
	v_cndmask_b32_e64 v121, v66, v121, s[40:41]                // 0000000069BC: D1000079 00A2F342
	v_cmp_le_u32_e64 s[40:41], v242, v64                       // 0000000069C4: D0CB0028 000281F2
	v_add_u32_e32 v242, 64, v242                               // 0000000069CC: 69E5E4C0
	s_nop 0                                                    // 0000000069D0: BF800000
	v_cndmask_b32_e64 v122, v66, v122, s[40:41]                // 0000000069D4: D100007A 00A2F542
	v_cmp_le_u32_e64 s[40:41], v243, v64                       // 0000000069DC: D0CB0028 000281F3
	v_add_u32_e32 v243, 64, v243                               // 0000000069E4: 69E7E6C0
	s_nop 0                                                    // 0000000069E8: BF800000
	v_cndmask_b32_e64 v123, v66, v123, s[40:41]                // 0000000069EC: D100007B 00A2F742
	v_cmp_le_u32_e64 s[40:41], v240, v64                       // 0000000069F4: D0CB0028 000281F0
	v_add_u32_e32 v240, 64, v240                               // 0000000069FC: 69E1E0C0
	s_nop 0                                                    // 000000006A00: BF800000
	v_cndmask_b32_e64 v124, v66, v124, s[40:41]                // 000000006A04: D100007C 00A2F942
	v_cmp_le_u32_e64 s[40:41], v241, v64                       // 000000006A0C: D0CB0028 000281F1
	v_add_u32_e32 v241, 64, v241                               // 000000006A14: 69E3E2C0
	s_nop 0                                                    // 000000006A18: BF800000
	v_cndmask_b32_e64 v125, v66, v125, s[40:41]                // 000000006A1C: D100007D 00A2FB42
	v_cmp_le_u32_e64 s[40:41], v242, v64                       // 000000006A24: D0CB0028 000281F2
	v_add_u32_e32 v242, 64, v242                               // 000000006A2C: 69E5E4C0
	s_nop 0                                                    // 000000006A30: BF800000
	v_cndmask_b32_e64 v126, v66, v126, s[40:41]                // 000000006A34: D100007E 00A2FD42
	v_cmp_le_u32_e64 s[40:41], v243, v64                       // 000000006A3C: D0CB0028 000281F3
	v_add_u32_e32 v243, 64, v243                               // 000000006A44: 69E7E6C0
	s_nop 0                                                    // 000000006A48: BF800000
	v_cndmask_b32_e64 v127, v66, v127, s[40:41]                // 000000006A4C: D100007F 00A2FF42

0000000000006a54 <label_1215>:
	s_add_u32 s90, s91, s90                                    // 000000006A54: 805A5A5B
	s_and_b32 s60, s72, 0xff                                   // 000000006A58: 863CFF48 000000FF
	v_mov_b32_e32 v65, s60                                     // 000000006A60: 7E82023C
	v_lshrrev_b32_e32 v240, 4, v0                              // 000000006A64: 21E00084
	v_mul_i32_i24_e32 v240, 4, v240                            // 000000006A68: 0DE1E084
	s_mul_i32 s60, s7, 16                                      // 000000006A6C: 923C9007
	v_add_u32_e32 v240, s60, v240                              // 000000006A70: 69E1E03C
	v_add_u32_e32 v241, 1, v240                                // 000000006A74: 69E3E081
	v_add_u32_e32 v242, 2, v240                                // 000000006A78: 69E5E082
	v_add_u32_e32 v243, 3, v240                                // 000000006A7C: 69E7E083
	v_mov_b32_e32 v64, 0xff800000                              // 000000006A80: 7E8002FF FF800000
	v_cmp_lt_u32_e64 s[40:41], v240, v65                       // 000000006A88: D0C90028 000283F0
	v_add_u32_e32 v240, 64, v240                               // 000000006A90: 69E1E0C0
	s_nop 0                                                    // 000000006A94: BF800000
	v_cndmask_b32_e64 v112, v64, v112, s[40:41]                // 000000006A98: D1000070 00A2E140
	v_cmp_lt_u32_e64 s[40:41], v241, v65                       // 000000006AA0: D0C90028 000283F1
	v_add_u32_e32 v241, 64, v241                               // 000000006AA8: 69E3E2C0
	s_nop 0                                                    // 000000006AAC: BF800000
	v_cndmask_b32_e64 v113, v64, v113, s[40:41]                // 000000006AB0: D1000071 00A2E340
	v_cmp_lt_u32_e64 s[40:41], v242, v65                       // 000000006AB8: D0C90028 000283F2
	v_add_u32_e32 v242, 64, v242                               // 000000006AC0: 69E5E4C0
	s_nop 0                                                    // 000000006AC4: BF800000
	v_cndmask_b32_e64 v114, v64, v114, s[40:41]                // 000000006AC8: D1000072 00A2E540
	v_cmp_lt_u32_e64 s[40:41], v243, v65                       // 000000006AD0: D0C90028 000283F3
	v_add_u32_e32 v243, 64, v243                               // 000000006AD8: 69E7E6C0
	s_nop 0                                                    // 000000006ADC: BF800000
	v_cndmask_b32_e64 v115, v64, v115, s[40:41]                // 000000006AE0: D1000073 00A2E740
	v_cmp_lt_u32_e64 s[40:41], v240, v65                       // 000000006AE8: D0C90028 000283F0
	v_add_u32_e32 v240, 64, v240                               // 000000006AF0: 69E1E0C0
	s_nop 0                                                    // 000000006AF4: BF800000
	v_cndmask_b32_e64 v116, v64, v116, s[40:41]                // 000000006AF8: D1000074 00A2E940
	v_cmp_lt_u32_e64 s[40:41], v241, v65                       // 000000006B00: D0C90028 000283F1
	v_add_u32_e32 v241, 64, v241                               // 000000006B08: 69E3E2C0
	s_nop 0                                                    // 000000006B0C: BF800000
	v_cndmask_b32_e64 v117, v64, v117, s[40:41]                // 000000006B10: D1000075 00A2EB40
	v_cmp_lt_u32_e64 s[40:41], v242, v65                       // 000000006B18: D0C90028 000283F2
	v_add_u32_e32 v242, 64, v242                               // 000000006B20: 69E5E4C0
	s_nop 0                                                    // 000000006B24: BF800000
	v_cndmask_b32_e64 v118, v64, v118, s[40:41]                // 000000006B28: D1000076 00A2ED40
	v_cmp_lt_u32_e64 s[40:41], v243, v65                       // 000000006B30: D0C90028 000283F3
	v_add_u32_e32 v243, 64, v243                               // 000000006B38: 69E7E6C0
	s_nop 0                                                    // 000000006B3C: BF800000
	v_cndmask_b32_e64 v119, v64, v119, s[40:41]                // 000000006B40: D1000077 00A2EF40
	v_cmp_lt_u32_e64 s[40:41], v240, v65                       // 000000006B48: D0C90028 000283F0
	v_add_u32_e32 v240, 64, v240                               // 000000006B50: 69E1E0C0
	s_nop 0                                                    // 000000006B54: BF800000
	v_cndmask_b32_e64 v120, v64, v120, s[40:41]                // 000000006B58: D1000078 00A2F140
	v_cmp_lt_u32_e64 s[40:41], v241, v65                       // 000000006B60: D0C90028 000283F1
	v_add_u32_e32 v241, 64, v241                               // 000000006B68: 69E3E2C0
	s_nop 0                                                    // 000000006B6C: BF800000
	v_cndmask_b32_e64 v121, v64, v121, s[40:41]                // 000000006B70: D1000079 00A2F340
	v_cmp_lt_u32_e64 s[40:41], v242, v65                       // 000000006B78: D0C90028 000283F2
	v_add_u32_e32 v242, 64, v242                               // 000000006B80: 69E5E4C0
	s_nop 0                                                    // 000000006B84: BF800000
	v_cndmask_b32_e64 v122, v64, v122, s[40:41]                // 000000006B88: D100007A 00A2F540
	v_cmp_lt_u32_e64 s[40:41], v243, v65                       // 000000006B90: D0C90028 000283F3
	v_add_u32_e32 v243, 64, v243                               // 000000006B98: 69E7E6C0
	s_nop 0                                                    // 000000006B9C: BF800000
	v_cndmask_b32_e64 v123, v64, v123, s[40:41]                // 000000006BA0: D100007B 00A2F740
	v_cmp_lt_u32_e64 s[40:41], v240, v65                       // 000000006BA8: D0C90028 000283F0
	v_add_u32_e32 v240, 64, v240                               // 000000006BB0: 69E1E0C0
	s_nop 0                                                    // 000000006BB4: BF800000
	v_cndmask_b32_e64 v124, v64, v124, s[40:41]                // 000000006BB8: D100007C 00A2F940
	v_cmp_lt_u32_e64 s[40:41], v241, v65                       // 000000006BC0: D0C90028 000283F1
	v_add_u32_e32 v241, 64, v241                               // 000000006BC8: 69E3E2C0
	s_nop 0                                                    // 000000006BCC: BF800000
	v_cndmask_b32_e64 v125, v64, v125, s[40:41]                // 000000006BD0: D100007D 00A2FB40
	v_cmp_lt_u32_e64 s[40:41], v242, v65                       // 000000006BD8: D0C90028 000283F2
	v_add_u32_e32 v242, 64, v242                               // 000000006BE0: 69E5E4C0
	s_nop 0                                                    // 000000006BE4: BF800000
	v_cndmask_b32_e64 v126, v64, v126, s[40:41]                // 000000006BE8: D100007E 00A2FD40
	v_cmp_lt_u32_e64 s[40:41], v243, v65                       // 000000006BF0: D0C90028 000283F3
	v_add_u32_e32 v243, 64, v243                               // 000000006BF8: 69E7E6C0
	s_nop 0                                                    // 000000006BFC: BF800000
	v_cndmask_b32_e64 v127, v64, v127, s[40:41]                // 000000006C00: D100007F 00A2FF40
	v_mov_b32_e32 v48, v112                                    // 000000006C08: 7E600370
	v_max3_f32 v48, v112, v113, v48                            // 000000006C0C: D1D30030 04C2E370
	v_max3_f32 v48, v114, v115, v48                            // 000000006C14: D1D30030 04C2E772
	v_max3_f32 v48, v116, v117, v48                            // 000000006C1C: D1D30030 04C2EB74
	v_max3_f32 v48, v118, v119, v48                            // 000000006C24: D1D30030 04C2EF76
	v_max3_f32 v48, v120, v121, v48                            // 000000006C2C: D1D30030 04C2F378
	v_max3_f32 v48, v122, v123, v48                            // 000000006C34: D1D30030 04C2F77A
	v_max3_f32 v48, v124, v125, v48                            // 000000006C3C: D1D30030 04C2FB7C
	v_max3_f32 v48, v126, v127, v48                            // 000000006C44: D1D30030 04C2FF7E
	ds_write_b32 v8, v48 offset:16896                          // 000000006C4C: D81A4200 00003008
	v_mul_u32_u24_dpp v64, v16, v54 row_newbcast:1 row_mask:0xf bank_mask:0xf// 000000006C54: 10806CFA FF015110
	v_mul_u32_u24_dpp v65, v16, v54 row_newbcast:5 row_mask:0xf bank_mask:0xf// 000000006C5C: 10826CFA FF015510
	v_mul_u32_u24_dpp v66, v16, v54 row_newbcast:9 row_mask:0xf bank_mask:0xf// 000000006C64: 10846CFA FF015910
	v_mul_u32_u24_dpp v67, v16, v54 row_newbcast:13 row_mask:0xf bank_mask:0xf// 000000006C6C: 10866CFA FF015D10
	v_add_u32_e32 v30, v64, v6                                 // 000000006C74: 683C0D40
	v_add_u32_e32 v31, v65, v6                                 // 000000006C78: 683E0D41
	v_add_u32_e32 v32, v66, v6                                 // 000000006C7C: 68400D42
	v_add_u32_e32 v33, v67, v6                                 // 000000006C80: 68420D43
	v_mul_f32_e32 v208, v49, v208                              // 000000006C84: 0BA1A131
	v_mul_f32_e32 v209, v49, v209                              // 000000006C88: 0BA3A331
	v_mul_f32_e32 v210, v49, v210                              // 000000006C8C: 0BA5A531
	v_mul_f32_e32 v211, v49, v211                              // 000000006C90: 0BA7A731
	v_mul_f32_e32 v212, v49, v212                              // 000000006C94: 0BA9A931
	v_mul_f32_e32 v213, v49, v213                              // 000000006C98: 0BABAB31
	v_mul_f32_e32 v214, v49, v214                              // 000000006C9C: 0BADAD31
	v_mul_f32_e32 v215, v49, v215                              // 000000006CA0: 0BAFAF31
	s_waitcnt lgkmcnt(0)                                       // 000000006CA4: BF8CC07F
	s_barrier                                                  // 000000006CA8: BF8A0000
	ds_read_b32 v64, v7 offset:16896                           // 000000006CAC: D86C4200 40000007
	ds_read_b32 v65, v7 offset:16960                           // 000000006CB4: D86C4240 41000007
	ds_read_b32 v66, v7 offset:17024                           // 000000006CBC: D86C4280 42000007
	ds_read_b32 v67, v7 offset:17088                           // 000000006CC4: D86C42C0 43000007
	ds_read_b32 v68, v7 offset:17152                           // 000000006CCC: D86C4300 44000007
	ds_read_b32 v69, v7 offset:17216                           // 000000006CD4: D86C4340 45000007
	ds_read_b32 v70, v7 offset:17280                           // 000000006CDC: D86C4380 46000007
	ds_read_b32 v71, v7 offset:17344                           // 000000006CE4: D86C43C0 47000007
	ds_read_b32 v72, v7 offset:17408                           // 000000006CEC: D86C4400 48000007
	ds_read_b32 v73, v7 offset:17472                           // 000000006CF4: D86C4440 49000007
	ds_read_b32 v74, v7 offset:17536                           // 000000006CFC: D86C4480 4A000007
	ds_read_b32 v75, v7 offset:17600                           // 000000006D04: D86C44C0 4B000007
	ds_read_b32 v76, v7 offset:17664                           // 000000006D0C: D86C4500 4C000007
	ds_read_b32 v77, v7 offset:17728                           // 000000006D14: D86C4540 4D000007
	ds_read_b32 v78, v7 offset:17792                           // 000000006D1C: D86C4580 4E000007
	ds_read_b32 v79, v7 offset:17856                           // 000000006D24: D86C45C0 4F000007
	v_cvt_f32_i32_e32 v176, v176                               // 000000006D2C: 7F600BB0
	v_cvt_f32_i32_e32 v177, v177                               // 000000006D30: 7F620BB1
	v_cvt_f32_i32_e32 v178, v178                               // 000000006D34: 7F640BB2
	v_cvt_f32_i32_e32 v179, v179                               // 000000006D38: 7F660BB3
	v_cvt_f32_i32_e32 v180, v180                               // 000000006D3C: 7F680BB4
	v_cvt_f32_i32_e32 v181, v181                               // 000000006D40: 7F6A0BB5
	v_cvt_f32_i32_e32 v182, v182                               // 000000006D44: 7F6C0BB6
	v_cvt_f32_i32_e32 v183, v183                               // 000000006D48: 7F6E0BB7
	v_mul_f32_e32 v176, v44, v176                              // 000000006D4C: 0B61612C
	v_mul_f32_e32 v177, v44, v177                              // 000000006D50: 0B63632C
	v_mul_f32_e32 v178, v44, v178                              // 000000006D54: 0B65652C
	v_mul_f32_e32 v179, v44, v179                              // 000000006D58: 0B67672C
	v_mul_f32_e32 v180, v44, v180                              // 000000006D5C: 0B69692C
	v_mul_f32_e32 v181, v44, v181                              // 000000006D60: 0B6B6B2C
	v_mul_f32_e32 v182, v44, v182                              // 000000006D64: 0B6D6D2C
	v_mul_f32_e32 v183, v44, v183                              // 000000006D68: 0B6F6F2C
	s_waitcnt lgkmcnt(0)                                       // 000000006D6C: BF8CC07F
	v_max3_f32 v48, v64, v65, v48                              // 000000006D70: D1D30030 04C28340
	v_max3_f32 v48, v66, v67, v48                              // 000000006D78: D1D30030 04C28742
	v_max3_f32 v48, v68, v69, v48                              // 000000006D80: D1D30030 04C28B44
	v_max3_f32 v48, v70, v71, v48                              // 000000006D88: D1D30030 04C28F46
	v_max3_f32 v48, v72, v73, v48                              // 000000006D90: D1D30030 04C29348
	v_max3_f32 v48, v74, v75, v48                              // 000000006D98: D1D30030 04C2974A
	v_max3_f32 v48, v76, v77, v48                              // 000000006DA0: D1D30030 04C29B4C
	v_max3_f32 v48, v78, v79, v48                              // 000000006DA8: D1D30030 04C29F4E
	v_mov_b32_e32 v64, 0xff800000                              // 000000006DB0: 7E8002FF FF800000
	v_cmp_eq_u32_e64 s[40:41], v64, v11                        // 000000006DB8: D0CA0028 00021740
	s_nop 1                                                    // 000000006DC0: BF800001
	v_max_f32_e32 v15, v48, v11                                // 000000006DC4: 161E1730
	v_mul_f32_e32 v53, s64, v15                                // 000000006DC8: 0A6A1E40
	v_fma_f32 v112, v112, s64, -v53                            // 000000006DCC: D1CB0070 84D48170
	v_fma_f32 v113, v113, s64, -v53                            // 000000006DD4: D1CB0071 84D48171
	v_fma_f32 v114, v114, s64, -v53                            // 000000006DDC: D1CB0072 84D48172
	v_fma_f32 v115, v115, s64, -v53                            // 000000006DE4: D1CB0073 84D48173
	v_fma_f32 v116, v116, s64, -v53                            // 000000006DEC: D1CB0074 84D48174
	v_fma_f32 v117, v117, s64, -v53                            // 000000006DF4: D1CB0075 84D48175
	v_fma_f32 v118, v118, s64, -v53                            // 000000006DFC: D1CB0076 84D48176
	v_fma_f32 v119, v119, s64, -v53                            // 000000006E04: D1CB0077 84D48177
	v_fma_f32 v120, v120, s64, -v53                            // 000000006E0C: D1CB0078 84D48178
	v_fma_f32 v121, v121, s64, -v53                            // 000000006E14: D1CB0079 84D48179
	v_fma_f32 v122, v122, s64, -v53                            // 000000006E1C: D1CB007A 84D4817A
	v_fma_f32 v123, v123, s64, -v53                            // 000000006E24: D1CB007B 84D4817B
	v_fma_f32 v124, v124, s64, -v53                            // 000000006E2C: D1CB007C 84D4817C
	v_fma_f32 v125, v125, s64, -v53                            // 000000006E34: D1CB007D 84D4817D
	v_fma_f32 v126, v126, s64, -v53                            // 000000006E3C: D1CB007E 84D4817E
	v_fma_f32 v127, v127, s64, -v53                            // 000000006E44: D1CB007F 84D4817F
	v_exp_f32_e32 v112, v112                                   // 000000006E4C: 7EE04170
	v_exp_f32_e32 v113, v113                                   // 000000006E50: 7EE24171
	v_exp_f32_e32 v114, v114                                   // 000000006E54: 7EE44172
	v_exp_f32_e32 v115, v115                                   // 000000006E58: 7EE64173
	v_exp_f32_e32 v116, v116                                   // 000000006E5C: 7EE84174
	v_exp_f32_e32 v117, v117                                   // 000000006E60: 7EEA4175
	v_exp_f32_e32 v118, v118                                   // 000000006E64: 7EEC4176
	v_exp_f32_e32 v119, v119                                   // 000000006E68: 7EEE4177
	v_exp_f32_e32 v120, v120                                   // 000000006E6C: 7EF04178
	v_exp_f32_e32 v121, v121                                   // 000000006E70: 7EF24179
	v_exp_f32_e32 v122, v122                                   // 000000006E74: 7EF4417A
	v_exp_f32_e32 v123, v123                                   // 000000006E78: 7EF6417B
	v_exp_f32_e32 v124, v124                                   // 000000006E7C: 7EF8417C
	v_exp_f32_e32 v125, v125                                   // 000000006E80: 7EFA417D
	v_exp_f32_e32 v126, v126                                   // 000000006E84: 7EFC417E
	v_exp_f32_e32 v127, v127                                   // 000000006E88: 7EFE417F
	v_mul_f32_dpp v240, v252, v112 quad_perm:[0,0,0,0] row_mask:0xf bank_mask:0xf// 000000006E8C: 0BE0E0FA FF0000FC
	v_mul_f32_dpp v241, v252, v113 quad_perm:[1,1,1,1] row_mask:0xf bank_mask:0xf// 000000006E94: 0BE2E2FA FF0055FC
	v_mul_f32_dpp v242, v252, v114 quad_perm:[2,2,2,2] row_mask:0xf bank_mask:0xf// 000000006E9C: 0BE4E4FA FF00AAFC
	v_mul_f32_dpp v243, v252, v115 quad_perm:[3,3,3,3] row_mask:0xf bank_mask:0xf// 000000006EA4: 0BE6E6FA FF00FFFC
	v_mul_f32_dpp v244, v253, v116 quad_perm:[0,0,0,0] row_mask:0xf bank_mask:0xf// 000000006EAC: 0BE8E8FA FF0000FD
	v_mul_f32_dpp v245, v253, v117 quad_perm:[1,1,1,1] row_mask:0xf bank_mask:0xf// 000000006EB4: 0BEAEAFA FF0055FD
	v_mul_f32_dpp v246, v253, v118 quad_perm:[2,2,2,2] row_mask:0xf bank_mask:0xf// 000000006EBC: 0BECECFA FF00AAFD
	v_mul_f32_dpp v247, v253, v119 quad_perm:[3,3,3,3] row_mask:0xf bank_mask:0xf// 000000006EC4: 0BEEEEFA FF00FFFD
	v_mul_f32_dpp v248, v254, v120 quad_perm:[0,0,0,0] row_mask:0xf bank_mask:0xf// 000000006ECC: 0BF0F0FA FF0000FE
	v_mul_f32_dpp v249, v254, v121 quad_perm:[1,1,1,1] row_mask:0xf bank_mask:0xf// 000000006ED4: 0BF2F2FA FF0055FE
	v_mul_f32_dpp v250, v254, v122 quad_perm:[2,2,2,2] row_mask:0xf bank_mask:0xf// 000000006EDC: 0BF4F4FA FF00AAFE
	v_mul_f32_dpp v251, v254, v123 quad_perm:[3,3,3,3] row_mask:0xf bank_mask:0xf// 000000006EE4: 0BF6F6FA FF00FFFE
	v_mul_f32_dpp v252, v255, v124 quad_perm:[0,0,0,0] row_mask:0xf bank_mask:0xf// 000000006EEC: 0BF8F8FA FF0000FF
	v_mul_f32_dpp v253, v255, v125 quad_perm:[1,1,1,1] row_mask:0xf bank_mask:0xf// 000000006EF4: 0BFAFAFA FF0055FF
	v_mul_f32_dpp v254, v255, v126 quad_perm:[2,2,2,2] row_mask:0xf bank_mask:0xf// 000000006EFC: 0BFCFCFA FF00AAFF
	v_mul_f32_dpp v255, v255, v127 quad_perm:[3,3,3,3] row_mask:0xf bank_mask:0xf// 000000006F04: 0BFEFEFA FF00FFFF
	v_mov_b32_e32 v48, 0x358637bd                              // 000000006F0C: 7E6002FF 358637BD
	v_max3_f32 v48, |v240|, |v241|, v48                        // 000000006F14: D1D30330 04C3E3F0
	v_max3_f32 v48, |v242|, |v243|, v48                        // 000000006F1C: D1D30330 04C3E7F2
	v_max3_f32 v48, |v244|, |v245|, v48                        // 000000006F24: D1D30330 04C3EBF4
	v_max3_f32 v48, |v246|, |v247|, v48                        // 000000006F2C: D1D30330 04C3EFF6
	v_max3_f32 v48, |v248|, |v249|, v48                        // 000000006F34: D1D30330 04C3F3F8
	v_max3_f32 v48, |v250|, |v251|, v48                        // 000000006F3C: D1D30330 04C3F7FA
	v_max3_f32 v48, |v252|, |v253|, v48                        // 000000006F44: D1D30330 04C3FBFC
	v_max3_f32 v48, |v254|, |v255|, v48                        // 000000006F4C: D1D30330 04C3FFFE
	ds_write_b32 v8, v48 offset:20992                          // 000000006F54: D81A5200 00003008
	v_sub_f32_e32 v49, v11, v15                                // 000000006F5C: 04621F0B
	v_cndmask_b32_e64 v49, v49, 0, s[40:41]                    // 000000006F60: D1000031 00A10131
	v_mov_b32_e32 v11, v15                                     // 000000006F68: 7E16030F
	v_mul_f32_e32 v49, s64, v49                                // 000000006F6C: 0A626240
	v_exp_f32_e32 v49, v49                                     // 000000006F70: 7E624131
	s_waitcnt lgkmcnt(0)                                       // 000000006F74: BF8CC07F
	s_barrier                                                  // 000000006F78: BF8A0000
	ds_read_b32 v64, v7 offset:20992                           // 000000006F7C: D86C5200 40000007
	ds_read_b32 v65, v7 offset:21056                           // 000000006F84: D86C5240 41000007
	ds_read_b32 v66, v7 offset:21120                           // 000000006F8C: D86C5280 42000007
	ds_read_b32 v67, v7 offset:21184                           // 000000006F94: D86C52C0 43000007
	ds_read_b32 v68, v7 offset:21248                           // 000000006F9C: D86C5300 44000007
	ds_read_b32 v69, v7 offset:21312                           // 000000006FA4: D86C5340 45000007
	ds_read_b32 v70, v7 offset:21376                           // 000000006FAC: D86C5380 46000007
	ds_read_b32 v71, v7 offset:21440                           // 000000006FB4: D86C53C0 47000007
	ds_read_b32 v72, v7 offset:21504                           // 000000006FBC: D86C5400 48000007
	ds_read_b32 v73, v7 offset:21568                           // 000000006FC4: D86C5440 49000007
	ds_read_b32 v74, v7 offset:21632                           // 000000006FCC: D86C5480 4A000007
	ds_read_b32 v75, v7 offset:21696                           // 000000006FD4: D86C54C0 4B000007
	ds_read_b32 v76, v7 offset:21760                           // 000000006FDC: D86C5500 4C000007
	ds_read_b32 v77, v7 offset:21824                           // 000000006FE4: D86C5540 4D000007
	ds_read_b32 v78, v7 offset:21888                           // 000000006FEC: D86C5580 4E000007
	ds_read_b32 v79, v7 offset:21952                           // 000000006FF4: D86C55C0 4F000007
	v_mul_f32_e32 v38, v49, v38                                // 000000006FFC: 0A4C4D31
	v_mov_b32_e32 v15, v112                                    // 000000007000: 7E1E0370
	v_add_f32_e32 v15, v113, v15                               // 000000007004: 021E1F71
	v_add_f32_e32 v15, v114, v15                               // 000000007008: 021E1F72
	v_add_f32_e32 v15, v115, v15                               // 00000000700C: 021E1F73
	v_add_f32_e32 v15, v116, v15                               // 000000007010: 021E1F74
	v_add_f32_e32 v15, v117, v15                               // 000000007014: 021E1F75
	v_add_f32_e32 v15, v118, v15                               // 000000007018: 021E1F76
	v_add_f32_e32 v15, v119, v15                               // 00000000701C: 021E1F77
	v_add_f32_e32 v15, v120, v15                               // 000000007020: 021E1F78
	v_add_f32_e32 v15, v121, v15                               // 000000007024: 021E1F79
	v_add_f32_e32 v15, v122, v15                               // 000000007028: 021E1F7A
	v_add_f32_e32 v15, v123, v15                               // 00000000702C: 021E1F7B
	v_add_f32_e32 v15, v124, v15                               // 000000007030: 021E1F7C
	v_add_f32_e32 v15, v125, v15                               // 000000007034: 021E1F7D
	v_add_f32_e32 v15, v126, v15                               // 000000007038: 021E1F7E
	v_add_f32_e32 v15, v127, v15                               // 00000000703C: 021E1F7F
	v_add_f32_e32 v38, v15, v38                                // 000000007040: 024C4D0F
	s_waitcnt lgkmcnt(0)                                       // 000000007044: BF8CC07F
	v_max3_f32 v48, |v64|, |v65|, v48                          // 000000007048: D1D30330 04C28340
	v_max3_f32 v48, |v66|, |v67|, v48                          // 000000007050: D1D30330 04C28742
	v_max3_f32 v48, |v68|, |v69|, v48                          // 000000007058: D1D30330 04C28B44
	v_max3_f32 v48, |v70|, |v71|, v48                          // 000000007060: D1D30330 04C28F46
	v_max3_f32 v48, |v72|, |v73|, v48                          // 000000007068: D1D30330 04C29348
	v_max3_f32 v48, |v74|, |v75|, v48                          // 000000007070: D1D30330 04C2974A
	v_max3_f32 v48, |v76|, |v77|, v48                          // 000000007078: D1D30330 04C29B4C
	v_max3_f32 v48, |v78|, |v79|, v48                          // 000000007080: D1D30330 04C29F4E
	s_nop 2                                                    // 000000007088: BF800002
	v_rcp_f32_e32 v48, v48                                     // 00000000708C: 7E604530
	s_nop 1                                                    // 000000007090: BF800001
	v_mul_f32_e32 v48, 0x42fe0000, v48                         // 000000007094: 0A6060FF 42FE0000
	v_mul_f32_e32 v112, v48, v240                              // 00000000709C: 0AE1E130
	v_mul_f32_e32 v113, v48, v241                              // 0000000070A0: 0AE3E330
	v_mul_f32_e32 v114, v48, v242                              // 0000000070A4: 0AE5E530
	v_mul_f32_e32 v115, v48, v243                              // 0000000070A8: 0AE7E730
	v_mul_f32_e32 v116, v48, v244                              // 0000000070AC: 0AE9E930
	v_mul_f32_e32 v117, v48, v245                              // 0000000070B0: 0AEBEB30
	v_mul_f32_e32 v118, v48, v246                              // 0000000070B4: 0AEDED30
	v_mul_f32_e32 v119, v48, v247                              // 0000000070B8: 0AEFEF30
	v_mul_f32_e32 v120, v48, v248                              // 0000000070BC: 0AF1F130
	v_mul_f32_e32 v121, v48, v249                              // 0000000070C0: 0AF3F330
	v_mul_f32_e32 v122, v48, v250                              // 0000000070C4: 0AF5F530
	v_mul_f32_e32 v123, v48, v251                              // 0000000070C8: 0AF7F730
	v_mul_f32_e32 v124, v48, v252                              // 0000000070CC: 0AF9F930
	v_mul_f32_e32 v125, v48, v253                              // 0000000070D0: 0AFBFB30
	v_mul_f32_e32 v126, v48, v254                              // 0000000070D4: 0AFDFD30
	v_mul_f32_e32 v127, v48, v255                              // 0000000070D8: 0AFFFF30
	v_cvt_i32_f32_e32 v112, v112                               // 0000000070DC: 7EE01170
	v_cvt_i32_f32_e32 v113, v113                               // 0000000070E0: 7EE21171
	v_cvt_i32_f32_e32 v114, v114                               // 0000000070E4: 7EE41172
	v_cvt_i32_f32_e32 v115, v115                               // 0000000070E8: 7EE61173
	v_cvt_i32_f32_e32 v116, v116                               // 0000000070EC: 7EE81174
	v_cvt_i32_f32_e32 v117, v117                               // 0000000070F0: 7EEA1175
	v_cvt_i32_f32_e32 v118, v118                               // 0000000070F4: 7EEC1176
	v_cvt_i32_f32_e32 v119, v119                               // 0000000070F8: 7EEE1177
	v_cvt_i32_f32_e32 v120, v120                               // 0000000070FC: 7EF01178
	v_cvt_i32_f32_e32 v121, v121                               // 000000007100: 7EF21179
	v_cvt_i32_f32_e32 v122, v122                               // 000000007104: 7EF4117A
	v_cvt_i32_f32_e32 v123, v123                               // 000000007108: 7EF6117B
	v_cvt_i32_f32_e32 v124, v124                               // 00000000710C: 7EF8117C
	v_cvt_i32_f32_e32 v125, v125                               // 000000007110: 7EFA117D
	v_cvt_i32_f32_e32 v126, v126                               // 000000007114: 7EFC117E
	v_cvt_i32_f32_e32 v127, v127                               // 000000007118: 7EFE117F
	v_perm_b32 v112, v113, v112, s53                           // 00000000711C: D1ED0070 00D6E171
	v_perm_b32 v112, v114, v112, s54                           // 000000007124: D1ED0070 00DAE172
	v_perm_b32 v112, v115, v112, s55                           // 00000000712C: D1ED0070 00DEE173
	v_perm_b32 v113, v117, v116, s53                           // 000000007134: D1ED0071 00D6E975
	v_perm_b32 v113, v118, v113, s54                           // 00000000713C: D1ED0071 00DAE376
	v_perm_b32 v113, v119, v113, s55                           // 000000007144: D1ED0071 00DEE377
	v_perm_b32 v114, v121, v120, s53                           // 00000000714C: D1ED0072 00D6F179
	v_perm_b32 v114, v122, v114, s54                           // 000000007154: D1ED0072 00DAE57A
	v_perm_b32 v114, v123, v114, s55                           // 00000000715C: D1ED0072 00DEE57B
	v_perm_b32 v115, v125, v124, s53                           // 000000007164: D1ED0073 00D6F97D
	v_perm_b32 v115, v126, v115, s54                           // 00000000716C: D1ED0073 00DAE77E
	v_perm_b32 v115, v127, v115, s55                           // 000000007174: D1ED0073 00DEE77F
	ds_write_b32 v10, v112 offset:25088                        // 00000000717C: D81A6200 0000700A
	ds_write_b32 v10, v113 offset:26112                        // 000000007184: D81A6600 0000710A
	ds_write_b32 v10, v114 offset:27136                        // 00000000718C: D81A6A00 0000720A
	ds_write_b32 v10, v115 offset:28160                        // 000000007194: D81A6E00 0000730A
	v_add_f32_e32 v208, v208, v176                             // 00000000719C: 03A161D0
	v_add_f32_e32 v209, v209, v177                             // 0000000071A0: 03A363D1
	v_add_f32_e32 v210, v210, v178                             // 0000000071A4: 03A565D2
	v_add_f32_e32 v211, v211, v179                             // 0000000071A8: 03A767D3
	v_add_f32_e32 v212, v212, v180                             // 0000000071AC: 03A969D4
	v_add_f32_e32 v213, v213, v181                             // 0000000071B0: 03AB6BD5
	v_add_f32_e32 v214, v214, v182                             // 0000000071B4: 03AD6DD6
	v_add_f32_e32 v215, v215, v183                             // 0000000071B8: 03AF6FD7
	v_rcp_f32_e32 v44, v48                                     // 0000000071BC: 7E584530
	s_waitcnt lgkmcnt(0)                                       // 0000000071C0: BF8CC07F
	s_barrier                                                  // 0000000071C4: BF8A0000
	ds_read_b64 v[112:113], v9 offset:25088                    // 0000000071C8: D8EC6200 70000009
	ds_read_b64 v[114:115], v9 offset:25216                    // 0000000071D0: D8EC6280 72000009
	ds_read_b64 v[116:117], v9 offset:26112                    // 0000000071D8: D8EC6600 74000009
	ds_read_b64 v[118:119], v9 offset:26240                    // 0000000071E0: D8EC6680 76000009
	ds_read_b64 v[120:121], v9 offset:27136                    // 0000000071E8: D8EC6A00 78000009
	ds_read_b64 v[122:123], v9 offset:27264                    // 0000000071F0: D8EC6A80 7A000009
	ds_read_b64 v[124:125], v9 offset:28160                    // 0000000071F8: D8EC6E00 7C000009
	ds_read_b64 v[126:127], v9 offset:28288                    // 000000007200: D8EC6E80 7E000009
	s_waitcnt vmcnt(0)                                         // 000000007208: BF8C0F70
	s_barrier                                                  // 00000000720C: BF8A0000
	s_waitcnt lgkmcnt(7)                                       // 000000007210: BF8CC77F
	v_mfma_i32_16x16x32_i8 v[176:179], a[96:97], v[112:113], 0 // 000000007214: D3D700B0 0A02E160
	s_waitcnt lgkmcnt(6)                                       // 00000000721C: BF8CC67F
	v_mfma_i32_16x16x32_i8 v[176:179], a[98:99], v[114:115], v[176:179]// 000000007220: D3D700B0 0EC2E562
	s_waitcnt lgkmcnt(5)                                       // 000000007228: BF8CC57F
	v_mfma_i32_16x16x32_i8 v[176:179], a[100:101], v[116:117], v[176:179]// 00000000722C: D3D700B0 0EC2E964
	s_waitcnt lgkmcnt(4)                                       // 000000007234: BF8CC47F
	v_mfma_i32_16x16x32_i8 v[176:179], a[102:103], v[118:119], v[176:179]// 000000007238: D3D700B0 0EC2ED66
	s_waitcnt lgkmcnt(3)                                       // 000000007240: BF8CC37F
	v_mfma_i32_16x16x32_i8 v[176:179], a[104:105], v[120:121], v[176:179]// 000000007244: D3D700B0 0EC2F168
	s_waitcnt lgkmcnt(2)                                       // 00000000724C: BF8CC27F
	v_mfma_i32_16x16x32_i8 v[176:179], a[106:107], v[122:123], v[176:179]// 000000007250: D3D700B0 0EC2F56A
	s_waitcnt lgkmcnt(1)                                       // 000000007258: BF8CC17F
	v_mfma_i32_16x16x32_i8 v[176:179], a[108:109], v[124:125], v[176:179]// 00000000725C: D3D700B0 0EC2F96C
	s_waitcnt lgkmcnt(0)                                       // 000000007264: BF8CC07F
	v_mfma_i32_16x16x32_i8 v[176:179], a[110:111], v[126:127], v[176:179]// 000000007268: D3D700B0 0EC2FD6E
	v_mfma_i32_16x16x32_i8 v[180:183], a[112:113], v[112:113], 0// 000000007270: D3D700B4 0A02E170
	v_mfma_i32_16x16x32_i8 v[180:183], a[114:115], v[114:115], v[180:183]// 000000007278: D3D700B4 0ED2E572
	v_mfma_i32_16x16x32_i8 v[180:183], a[116:117], v[116:117], v[180:183]// 000000007280: D3D700B4 0ED2E974
	v_mfma_i32_16x16x32_i8 v[180:183], a[118:119], v[118:119], v[180:183]// 000000007288: D3D700B4 0ED2ED76
	v_mfma_i32_16x16x32_i8 v[180:183], a[120:121], v[120:121], v[180:183]// 000000007290: D3D700B4 0ED2F178
	v_mfma_i32_16x16x32_i8 v[180:183], a[122:123], v[122:123], v[180:183]// 000000007298: D3D700B4 0ED2F57A
	v_mfma_i32_16x16x32_i8 v[180:183], a[124:125], v[124:125], v[180:183]// 0000000072A0: D3D700B4 0ED2F97C
	v_mfma_i32_16x16x32_i8 v[180:183], a[126:127], v[126:127], v[180:183]// 0000000072A8: D3D700B4 0ED2FD7E
	s_nop 4                                                    // 0000000072B0: BF800004
	s_branch label_142E                                        // 0000000072B4: BF820000

00000000000072b8 <label_142E>:
	v_mul_f32_e32 v208, v49, v208                              // 0000000072B8: 0BA1A131
	v_mul_f32_e32 v209, v49, v209                              // 0000000072BC: 0BA3A331
	v_mul_f32_e32 v210, v49, v210                              // 0000000072C0: 0BA5A531
	v_mul_f32_e32 v211, v49, v211                              // 0000000072C4: 0BA7A731
	v_mul_f32_e32 v212, v49, v212                              // 0000000072C8: 0BA9A931
	v_mul_f32_e32 v213, v49, v213                              // 0000000072CC: 0BABAB31
	v_mul_f32_e32 v214, v49, v214                              // 0000000072D0: 0BADAD31
	v_mul_f32_e32 v215, v49, v215                              // 0000000072D4: 0BAFAF31
	v_cvt_f32_i32_e32 v176, v176                               // 0000000072D8: 7F600BB0
	v_cvt_f32_i32_e32 v177, v177                               // 0000000072DC: 7F620BB1
	v_cvt_f32_i32_e32 v178, v178                               // 0000000072E0: 7F640BB2
	v_cvt_f32_i32_e32 v179, v179                               // 0000000072E4: 7F660BB3
	v_cvt_f32_i32_e32 v180, v180                               // 0000000072E8: 7F680BB4
	v_cvt_f32_i32_e32 v181, v181                               // 0000000072EC: 7F6A0BB5
	v_cvt_f32_i32_e32 v182, v182                               // 0000000072F0: 7F6C0BB6
	v_cvt_f32_i32_e32 v183, v183                               // 0000000072F4: 7F6E0BB7
	v_mul_f32_e32 v176, v44, v176                              // 0000000072F8: 0B61612C
	v_mul_f32_e32 v177, v44, v177                              // 0000000072FC: 0B63632C
	v_mul_f32_e32 v178, v44, v178                              // 000000007300: 0B65652C
	v_mul_f32_e32 v179, v44, v179                              // 000000007304: 0B67672C
	v_mul_f32_e32 v180, v44, v180                              // 000000007308: 0B69692C
	v_mul_f32_e32 v181, v44, v181                              // 00000000730C: 0B6B6B2C
	v_mul_f32_e32 v182, v44, v182                              // 000000007310: 0B6D6D2C
	v_mul_f32_e32 v183, v44, v183                              // 000000007314: 0B6F6F2C
	v_add_f32_e32 v208, v208, v176                             // 000000007318: 03A161D0
	v_add_f32_e32 v209, v209, v177                             // 00000000731C: 03A363D1
	v_add_f32_e32 v210, v210, v178                             // 000000007320: 03A565D2
	v_add_f32_e32 v211, v211, v179                             // 000000007324: 03A767D3
	v_add_f32_e32 v212, v212, v180                             // 000000007328: 03A969D4
	v_add_f32_e32 v213, v213, v181                             // 00000000732C: 03AB6BD5
	v_add_f32_e32 v214, v214, v182                             // 000000007330: 03AD6DD6
	v_add_f32_e32 v215, v215, v183                             // 000000007334: 03AF6FD7
	ds_write_b32 v8, v38 offset:16896                          // 000000007338: D81A4200 00002608
	s_waitcnt lgkmcnt(0)                                       // 000000007340: BF8CC07F
	s_barrier                                                  // 000000007344: BF8A0000
	ds_read_b32 v64, v7 offset:16896                           // 000000007348: D86C4200 40000007
	ds_read_b32 v65, v7 offset:16960                           // 000000007350: D86C4240 41000007
	ds_read_b32 v66, v7 offset:17024                           // 000000007358: D86C4280 42000007
	ds_read_b32 v67, v7 offset:17088                           // 000000007360: D86C42C0 43000007
	ds_read_b32 v68, v7 offset:17152                           // 000000007368: D86C4300 44000007
	ds_read_b32 v69, v7 offset:17216                           // 000000007370: D86C4340 45000007
	ds_read_b32 v70, v7 offset:17280                           // 000000007378: D86C4380 46000007
	ds_read_b32 v71, v7 offset:17344                           // 000000007380: D86C43C0 47000007
	ds_read_b32 v72, v7 offset:17408                           // 000000007388: D86C4400 48000007
	ds_read_b32 v73, v7 offset:17472                           // 000000007390: D86C4440 49000007
	ds_read_b32 v74, v7 offset:17536                           // 000000007398: D86C4480 4A000007
	ds_read_b32 v75, v7 offset:17600                           // 0000000073A0: D86C44C0 4B000007
	ds_read_b32 v76, v7 offset:17664                           // 0000000073A8: D86C4500 4C000007
	ds_read_b32 v77, v7 offset:17728                           // 0000000073B0: D86C4540 4D000007
	ds_read_b32 v78, v7 offset:17792                           // 0000000073B8: D86C4580 4E000007
	ds_read_b32 v79, v7 offset:17856                           // 0000000073C0: D86C45C0 4F000007
	s_waitcnt lgkmcnt(0)                                       // 0000000073C8: BF8CC07F
	v_mov_b32_e32 v38, 0                                       // 0000000073CC: 7E4C0280
	v_add_f32_e32 v38, v64, v38                                // 0000000073D0: 024C4D40
	v_add_f32_e32 v38, v65, v38                                // 0000000073D4: 024C4D41
	v_add_f32_e32 v38, v66, v38                                // 0000000073D8: 024C4D42
	v_add_f32_e32 v38, v67, v38                                // 0000000073DC: 024C4D43
	v_add_f32_e32 v38, v68, v38                                // 0000000073E0: 024C4D44
	v_add_f32_e32 v38, v69, v38                                // 0000000073E4: 024C4D45
	v_add_f32_e32 v38, v70, v38                                // 0000000073E8: 024C4D46
	v_add_f32_e32 v38, v71, v38                                // 0000000073EC: 024C4D47
	v_add_f32_e32 v38, v72, v38                                // 0000000073F0: 024C4D48
	v_add_f32_e32 v38, v73, v38                                // 0000000073F4: 024C4D49
	v_add_f32_e32 v38, v74, v38                                // 0000000073F8: 024C4D4A
	v_add_f32_e32 v38, v75, v38                                // 0000000073FC: 024C4D4B
	v_add_f32_e32 v38, v76, v38                                // 000000007400: 024C4D4C
	v_add_f32_e32 v38, v77, v38                                // 000000007404: 024C4D4D
	v_add_f32_e32 v38, v78, v38                                // 000000007408: 024C4D4E
	v_add_f32_e32 v38, v79, v38                                // 00000000740C: 024C4D4F
	s_nop 1                                                    // 000000007410: BF800001
	v_rcp_f32_e32 v38, v38                                     // 000000007414: 7E4C4526
	s_nop 1                                                    // 000000007418: BF800001
	v_mul_f32_e32 v208, v38, v208                              // 00000000741C: 0BA1A126
	v_mul_f32_e32 v209, v38, v209                              // 000000007420: 0BA3A326
	v_mul_f32_e32 v210, v38, v210                              // 000000007424: 0BA5A526
	v_mul_f32_e32 v211, v38, v211                              // 000000007428: 0BA7A726
	v_mul_f32_e32 v212, v38, v212                              // 00000000742C: 0BA9A926
	v_mul_f32_e32 v213, v38, v213                              // 000000007430: 0BABAB26
	v_mul_f32_e32 v214, v38, v214                              // 000000007434: 0BADAD26
	v_mul_f32_e32 v215, v38, v215                              // 000000007438: 0BAFAF26
	v_mov_b32_e32 v19, 0xffff0000                              // 00000000743C: 7E2602FF FFFF0000
	v_mov_b32_e32 v20, 0x7fff0000                              // 000000007444: 7E2802FF 7FFF0000
	v_mov_b32_e32 v21, 0x7fff                                  // 00000000744C: 7E2A02FF 00007FFF
	v_cvt_pkrtz_f16_f32 v64, v208, v209                        // 000000007454: D2960040 0003A3D0
	v_mov_b32_e32 v208, v64                                    // 00000000745C: 7FA00340
	v_cvt_pkrtz_f16_f32 v64, v210, v211                        // 000000007460: D2960040 0003A7D2
	v_mov_b32_e32 v209, v64                                    // 000000007468: 7FA20340
	v_cvt_pkrtz_f16_f32 v64, v212, v213                        // 00000000746C: D2960040 0003ABD4
	v_mov_b32_e32 v210, v64                                    // 000000007474: 7FA40340
	v_cvt_pkrtz_f16_f32 v64, v214, v215                        // 000000007478: D2960040 0003AFD6
	v_mov_b32_e32 v211, v64                                    // 000000007480: 7FA60340
	s_nop 1                                                    // 000000007484: BF800001
	v_lshrrev_b32_e32 v64, 4, v0                               // 000000007488: 20800084
	v_mul_i32_i24_e32 v68, 34, v64                             // 00000000748C: 0C8880A2
	v_and_b32_e32 v64, 15, v0                                  // 000000007490: 2680008F
	v_mul_i32_i24_e32 v65, 2, v64                              // 000000007494: 0C828082
	v_add_u32_e32 v68, v65, v68                                // 000000007498: 68888941
	s_mul_i32 s60, s7, 0x88                                    // 00000000749C: 923CFF07 00000088
	v_add_u32_e32 v68, s60, v68                                // 0000000074A4: 6888883C
	v_lshlrev_b32_e32 v68, 2, v68                              // 0000000074A8: 24888882
	ds_write_b64 v68, v[208:209] offset:41472                  // 0000000074AC: D89AA200 0000D044
	ds_write_b64 v68, v[210:211] offset:43648                  // 0000000074B4: D89AAA80 0000D244
	v_lshrrev_b32_e32 v64, 1, v0                               // 0000000074BC: 20800081
	v_mul_i32_i24_e32 v68, 34, v64                             // 0000000074C0: 0C8880A2
	v_and_b32_e32 v65, 1, v0                                   // 0000000074C4: 26820081
	v_add_u32_e32 v68, v65, v68                                // 0000000074C8: 68888941
	s_mul_i32 s60, s7, 2                                       // 0000000074CC: 923C8207
	v_add_u32_e32 v68, s60, v68                                // 0000000074D0: 6888883C
	v_lshlrev_b32_e32 v68, 2, v68                              // 0000000074D4: 24888882
	s_waitcnt lgkmcnt(0)                                       // 0000000074D8: BF8CC07F
	s_barrier                                                  // 0000000074DC: BF8A0000
	ds_read_b32 v208, v68 offset:41472                         // 0000000074E0: D86CA200 D0000044
	ds_read_b32 v209, v68 offset:41504                         // 0000000074E8: D86CA220 D1000044
	ds_read_b32 v210, v68 offset:41536                         // 0000000074F0: D86CA240 D2000044
	ds_read_b32 v211, v68 offset:41568                         // 0000000074F8: D86CA260 D3000044
	s_mul_i32 s60, s7, 0x100                                   // 000000007500: 923CFF07 00000100
	v_lshlrev_b32_e32 v64, 2, v0                               // 000000007508: 24800082
	v_add_u32_e64 v64, v64, s60                                // 00000000750C: D1340040 00007940
	s_waitcnt lgkmcnt(0)                                       // 000000007514: BF8CC07F
	buffer_store_dword v208, v64, s[8:11], 0 offen             // 000000007518: E0701000 8002D040
	buffer_store_dword v209, v64, s[8:11], 0 offen offset:1024 // 000000007520: E0701400 8002D140
	buffer_store_dword v210, v64, s[8:11], 0 offen offset:2048 // 000000007528: E0701800 8002D240
	buffer_store_dword v211, v64, s[8:11], 0 offen offset:3072 // 000000007530: E0701C00 8002D340
	s_add_u32 s8, s75, s8                                      // 000000007538: 8008084B
	s_addc_u32 s9, 0, s9                                       // 00000000753C: 82090980
	s_branch label_3ABA                                        // 000000007540: BF8225E9

0000000000007544 <label_14D1>:
	s_mul_i32 s60, s3, s65                                     // 000000007544: 923C4103
	s_mul_i32 s60, s60, 4                                      // 000000007548: 923C843C
	s_add_u32 s24, s60, s24                                    // 00000000754C: 8018183C
	s_addc_u32 s25, 0, s25                                     // 000000007550: 82191980
	s_mov_b32 s56, 64                                          // 000000007554: BEB800C0
	s_add_u32 s73, s72, 15                                     // 000000007558: 80498F48
	s_lshr_b32 s73, s73, 4                                     // 00000000755C: 8F498449
	s_mul_i32 s60, s73, 4                                      // 000000007560: 923C8449
	s_mov_b32 s26, s60                                         // 000000007564: BE9A003C
	s_sub_u32 s89, s72, s86                                    // 000000007568: 80D95648
	s_mov_b32 s90, 0xff                                        // 00000000756C: BEDA00FF 000000FF
	s_mov_b32 s91, 0x100                                       // 000000007574: BEDB00FF 00000100
	v_and_b32_e32 v65, 3, v0                                   // 00000000757C: 26820083
	v_cmp_eq_u32_e64 s[60:61], 0, v65                          // 000000007580: D0CA003C 00028280
	v_and_b32_e32 v64, 12, v0                                  // 000000007588: 2680008C
	v_add_u32_e32 v1, s7, v64                                  // 00000000758C: 68028007
	v_cndmask_b32_e64 v1, 0, v1, s[60:61]                      // 000000007590: D1000001 00F20280
	v_and_b32_e32 v65, 3, v0                                   // 000000007598: 26820083
	v_cmp_eq_u32_e64 s[60:61], 1, v65                          // 00000000759C: D0CA003C 00028281
	v_lshrrev_b32_e32 v64, 4, v0                               // 0000000075A4: 20800084
	v_and_b32_e32 v65, 12, v0                                  // 0000000075A8: 2682008C
	v_add_u32_e32 v64, v65, v64                                // 0000000075AC: 68808141
	v_cndmask_b32_e64 v64, 0, v64, s[60:61]                    // 0000000075B0: D1000040 00F28080
	v_add_u32_e32 v1, v1, v64                                  // 0000000075B8: 68028101
	v_lshlrev_b32_e32 v1, 2, v1                                // 0000000075BC: 24020282
	buffer_load_dword v16, v1, s[24:27], 0 offen               // 0000000075C0: E0501000 80061001
	v_add_u32_e32 v1, s56, v1                                  // 0000000075C8: 68020238
	buffer_load_dword v17, v1, s[24:27], 0 offen               // 0000000075CC: E0501000 80061101
	s_cmp_le_u32 s73, 32                                       // 0000000075D4: BF0BA049
	s_cselect_b32 s56, 0, s56                                  // 0000000075D8: 85383880
	s_mul_i32 s60, s2, s67                                     // 0000000075DC: 923C4302
	s_mul_i32 s61, s84, s74                                    // 0000000075E0: 923D4A54
	s_add_u32 s60, s60, s61                                    // 0000000075E4: 803C3D3C
	s_add_u32 s12, s60, s12                                    // 0000000075E8: 800C0C3C
	s_addc_u32 s13, 0, s13                                     // 0000000075EC: 820D0D80
	s_mul_i32 s60, s7, 0x108                                   // 0000000075F0: 923CFF07 00000108
	s_add_u32 m0, 0, s60                                       // 0000000075F8: 807C3C80
	s_mul_i32 s60, s7, 0x100                                   // 0000000075FC: 923CFF07 00000100
	v_lshlrev_b32_e32 v64, 2, v0                               // 000000007604: 24800082
	v_add_u32_e64 v64, v64, s60                                // 000000007608: D1340040 00007940
	v_add_u32_e32 v65, 0x400, v64                              // 000000007610: 688280FF 00000400
	v_add_u32_e32 v66, 0x800, v64                              // 000000007618: 688480FF 00000800
	v_add_u32_e32 v67, 0xc00, v64                              // 000000007620: 688680FF 00000C00
	buffer_load_dword v64, s[12:15], 0 offen lds               // 000000007628: E0511000 80030040
	s_mul_i32 s60, 4, 0x108                                    // 000000007630: 923CFF84 00000108
	s_add_u32 m0, m0, s60                                      // 000000007638: 807C3C7C
	buffer_load_dword v65, s[12:15], 0 offen lds               // 00000000763C: E0511000 80030041
	s_mul_i32 s60, 4, 0x108                                    // 000000007644: 923CFF84 00000108
	s_add_u32 m0, m0, s60                                      // 00000000764C: 807C3C7C
	buffer_load_dword v66, s[12:15], 0 offen lds               // 000000007650: E0511000 80030042
	s_mul_i32 s60, 4, 0x108                                    // 000000007658: 923CFF84 00000108
	s_add_u32 m0, m0, s60                                      // 000000007660: 807C3C7C
	buffer_load_dword v67, s[12:15], 0 offen lds               // 000000007664: E0511000 80030043
	s_mul_i32 s60, 4, 0x108                                    // 00000000766C: 923CFF84 00000108
	s_add_u32 m0, m0, s60                                      // 000000007674: 807C3C7C
	s_add_u32 s12, s74, s12                                    // 000000007678: 800C0C4A
	s_addc_u32 s13, 0, s13                                     // 00000000767C: 820D0D80
	buffer_load_dword v64, s[12:15], 0 offen lds               // 000000007680: E0511000 80030040
	s_mul_i32 s60, 4, 0x108                                    // 000000007688: 923CFF84 00000108
	s_add_u32 m0, m0, s60                                      // 000000007690: 807C3C7C
	buffer_load_dword v65, s[12:15], 0 offen lds               // 000000007694: E0511000 80030041
	s_mul_i32 s60, 4, 0x108                                    // 00000000769C: 923CFF84 00000108
	s_add_u32 m0, m0, s60                                      // 0000000076A4: 807C3C7C
	buffer_load_dword v66, s[12:15], 0 offen lds               // 0000000076A8: E0511000 80030042
	s_mul_i32 s60, 4, 0x108                                    // 0000000076B0: 923CFF84 00000108
	s_add_u32 m0, m0, s60                                      // 0000000076B8: 807C3C7C
	buffer_load_dword v67, s[12:15], 0 offen lds               // 0000000076BC: E0511000 80030043
	s_mul_i32 s60, 4, 0x108                                    // 0000000076C4: 923CFF84 00000108
	s_add_u32 m0, m0, s60                                      // 0000000076CC: 807C3C7C
	s_add_u32 s12, s74, s12                                    // 0000000076D0: 800C0C4A
	s_addc_u32 s13, 0, s13                                     // 0000000076D4: 820D0D80
	v_lshrrev_b32_e32 v64, 4, v0                               // 0000000076D8: 20800084
	v_lshlrev_b32_e32 v64, 2, v64                              // 0000000076DC: 24808082
	v_and_b32_e32 v65, 3, v0                                   // 0000000076E0: 26820083
	v_add_u32_e32 v64, v65, v64                                // 0000000076E4: 68808141
	v_lshlrev_b32_e32 v59, 2, v64                              // 0000000076E8: 24768082
	v_mov_b32_e32 v60, v59                                     // 0000000076EC: 7E78033B
	s_mul_i32 s60, s2, 64                                      // 0000000076F0: 923CC002
	s_add_u32 s32, s60, s32                                    // 0000000076F4: 8020203C
	s_addc_u32 s33, 0, s33                                     // 0000000076F8: 82212180
	s_add_u32 s36, s60, s36                                    // 0000000076FC: 8024243C
	s_addc_u32 s37, 0, s37                                     // 000000007700: 82252580
	s_mul_i32 s60, s2, s76                                     // 000000007704: 923C4C02
	s_mul_i32 s61, s84, s75                                    // 000000007708: 923D4B54
	s_add_u32 s60, s60, s61                                    // 00000000770C: 803C3D3C
	s_add_u32 s8, s60, s8                                      // 000000007710: 8008083C
	s_addc_u32 s9, 0, s9                                       // 000000007714: 82090980
	s_mov_b32 s70, 0                                           // 000000007718: BEC60080
	s_and_b32 s71, s72, 0xffffff00                             // 00000000771C: 8647FF48 FFFFFF00
	s_mov_b32 s42, 0xff00ff00                                  // 000000007724: BEAA00FF FF00FF00
	s_mov_b32 s43, 0xff00ff00                                  // 00000000772C: BEAB00FF FF00FF00
	s_mov_b32 s44, 0xf0f0f0f0                                  // 000000007734: BEAC00FF F0F0F0F0
	s_mov_b32 s45, 0xf0f0f0f0                                  // 00000000773C: BEAD00FF F0F0F0F0
	s_mov_b32 s78, 0xff00ff                                    // 000000007744: BECE00FF 00FF00FF
	s_mov_b32 s79, 0xff00ff                                    // 00000000774C: BECF00FF 00FF00FF
	v_mul_i32_i24_e64 v63, 64, s66                             // 000000007754: D106003F 000084C0
	v_mov_b32_e32 v54, s68                                     // 00000000775C: 7E6C0244
	s_mov_b32 s52, 0x7060302                                   // 000000007760: BEB400FF 07060302
	s_mov_b32 s53, 0x400                                       // 000000007768: BEB500FF 00000400
	s_mov_b32 s54, 0x40100                                     // 000000007770: BEB600FF 00040100
	s_mov_b32 s55, 0x4020100                                   // 000000007778: BEB700FF 04020100
	s_mov_b32 s6, 0x3fb8aa3b                                   // 000000007780: BE8600FF 3FB8AA3B
	v_mov_b32_e32 v11, 0xff800000                              // 000000007788: 7E1602FF FF800000
	v_mov_b32_e32 v12, 0xff800000                              // 000000007790: 7E1802FF FF800000
	v_mov_b32_e32 v49, 0                                       // 000000007798: 7E620280
	v_mov_b32_e32 v50, 0                                       // 00000000779C: 7E640280
	v_mov_b32_e32 v38, 0                                       // 0000000077A0: 7E4C0280
	v_mov_b32_e32 v39, 0                                       // 0000000077A4: 7E4E0280
	v_mov_b32_e32 v44, 0                                       // 0000000077A8: 7E580280
	v_mov_b32_e32 v45, 0                                       // 0000000077AC: 7E5A0280
	v_add_u32_e32 v1, s56, v1                                  // 0000000077B0: 68020238
	v_and_b32_e32 v7, 15, v0                                   // 0000000077B4: 260E008F
	v_lshlrev_b32_e32 v7, 2, v7                                // 0000000077B8: 240E0E82
	v_lshlrev_b32_e32 v8, 2, v0                                // 0000000077BC: 24100082
	s_mul_i32 s60, 0x100, s7                                   // 0000000077C0: 923C07FF 00000100
	v_add_u32_e32 v8, s60, v8                                  // 0000000077C8: 6810103C
	v_lshrrev_b32_e32 v64, 4, v0                               // 0000000077CC: 20800084
	v_lshlrev_b32_e32 v65, 6, v64                              // 0000000077D0: 24828086
	v_and_b32_e32 v64, 15, v0                                  // 0000000077D4: 2680008F
	v_lshlrev_b32_e32 v64, 1, v64                              // 0000000077D8: 24808081
	v_add_u32_e32 v65, v64, v65                                // 0000000077DC: 68828340
	v_lshlrev_b32_e32 v9, 2, v65                               // 0000000077E0: 24128282
	v_lshrrev_b32_e32 v64, 5, v0                               // 0000000077E4: 20800085
	v_lshlrev_b32_e32 v65, 5, v64                              // 0000000077E8: 24828085
	v_and_b32_e32 v64, 31, v0                                  // 0000000077EC: 2680009F
	v_lshrrev_b32_e32 v66, 4, v64                              // 0000000077F0: 20848084
	v_add_u32_e32 v65, v66, v65                                // 0000000077F4: 68828342
	v_and_b32_e32 v64, 15, v0                                  // 0000000077F8: 2680008F
	v_lshlrev_b32_e32 v64, 1, v64                              // 0000000077FC: 24808081
	v_add_u32_e32 v65, v64, v65                                // 000000007800: 68828340
	v_lshlrev_b32_e32 v64, 2, v65                              // 000000007804: 24808282
	s_mul_i32 s60, 0x100, s7                                   // 000000007808: 923C07FF 00000100
	v_add_u32_e64 v10, v64, s60                                // 000000007810: D134000A 00007940
	v_lshlrev_b32_e32 v5, 4, v0                                // 000000007818: 240A0084
	s_mul_i32 s60, s2, s69                                     // 00000000781C: 923C4502
	s_add_u32 s16, s60, s16                                    // 000000007820: 8010103C
	s_addc_u32 s17, 0, s17                                     // 000000007824: 82111180
	v_and_b32_e32 v64, 15, v0                                  // 000000007828: 2680008F
	v_lshlrev_b32_e32 v6, 4, v64                               // 00000000782C: 240C8084
	s_mul_i32 s61, s2, s69                                     // 000000007830: 923D4502
	s_mul_i32 s60, s7, 0x100                                   // 000000007834: 923CFF07 00000100
	s_add_u32 s60, s60, s61                                    // 00000000783C: 803C3D3C
	s_add_u32 s20, s60, s20                                    // 000000007840: 8014143C
	s_addc_u32 s21, 0, s21                                     // 000000007844: 82151580
	s_waitcnt vmcnt(4)                                         // 000000007848: BF8C0F74
	v_mul_u32_u24_dpp v64, v16, v54 row_newbcast:0 row_mask:0xf bank_mask:0xf// 00000000784C: 10806CFA FF015010
	v_mul_u32_u24_dpp v65, v16, v54 row_newbcast:4 row_mask:0xf bank_mask:0xf// 000000007854: 10826CFA FF015410
	v_mul_u32_u24_dpp v66, v16, v54 row_newbcast:8 row_mask:0xf bank_mask:0xf// 00000000785C: 10846CFA FF015810
	v_mul_u32_u24_dpp v67, v16, v54 row_newbcast:12 row_mask:0xf bank_mask:0xf// 000000007864: 10866CFA FF015C10
	v_add_u32_e32 v22, v64, v5                                 // 00000000786C: 682C0B40
	v_add_u32_e32 v23, v65, v5                                 // 000000007870: 682E0B41
	v_add_u32_e32 v24, v66, v5                                 // 000000007874: 68300B42
	v_add_u32_e32 v25, v67, v5                                 // 000000007878: 68320B43
	v_mul_u32_u24_dpp v64, v16, v54 row_newbcast:1 row_mask:0xf bank_mask:0xf// 00000000787C: 10806CFA FF015110
	v_mul_u32_u24_dpp v65, v16, v54 row_newbcast:5 row_mask:0xf bank_mask:0xf// 000000007884: 10826CFA FF015510
	v_mul_u32_u24_dpp v66, v16, v54 row_newbcast:9 row_mask:0xf bank_mask:0xf// 00000000788C: 10846CFA FF015910
	v_mul_u32_u24_dpp v67, v16, v54 row_newbcast:13 row_mask:0xf bank_mask:0xf// 000000007894: 10866CFA FF015D10
	v_add_u32_e32 v30, v64, v6                                 // 00000000789C: 683C0D40
	v_add_u32_e32 v31, v65, v6                                 // 0000000078A0: 683E0D41
	v_add_u32_e32 v32, v66, v6                                 // 0000000078A4: 68400D42
	v_add_u32_e32 v33, v67, v6                                 // 0000000078A8: 68420D43
	v_mul_u32_u24_dpp v64, v16, v63 quad_perm:[0,0,0,0] row_mask:0xf bank_mask:0xf// 0000000078AC: 10807EFA FF000010
	v_add_u32_e32 v2, v64, v59                                 // 0000000078B4: 68047740
	v_mul_u32_u24_dpp v64, v16, v63 quad_perm:[0,0,0,0] row_mask:0xf bank_mask:0xf// 0000000078B8: 10807EFA FF000010
	v_add_u32_e32 v55, v64, v60                                // 0000000078C0: 686E7940
	buffer_load_dword v42, v2, s[32:35], 0 offen               // 0000000078C4: E0501000 80082A02
	buffer_load_dwordx4 a[0:3], v22, s[16:19], 0 offen         // 0000000078CC: E05C1000 80840016
	buffer_load_dwordx4 a[4:7], v22, s[16:19], 0 offen offset:1024// 0000000078D4: E05C1400 80840416
	buffer_load_dwordx4 a[8:11], v23, s[16:19], 0 offen        // 0000000078DC: E05C1000 80840817
	buffer_load_dwordx4 a[12:15], v23, s[16:19], 0 offen offset:1024// 0000000078E4: E05C1400 80840C17
	buffer_load_dwordx4 a[16:19], v24, s[16:19], 0 offen       // 0000000078EC: E05C1000 80841018
	buffer_load_dwordx4 a[20:23], v24, s[16:19], 0 offen offset:1024// 0000000078F4: E05C1400 80841418
	buffer_load_dwordx4 a[24:27], v25, s[16:19], 0 offen       // 0000000078FC: E05C1000 80841819
	buffer_load_dwordx4 a[28:31], v25, s[16:19], 0 offen offset:1024// 000000007904: E05C1400 80841C19
	buffer_load_dword v57, v55, s[36:39], 0 offen              // 00000000790C: E0501000 80093937
	buffer_load_dwordx4 a[64:67], v30, s[20:23], 0 offen       // 000000007914: E05C1000 8085401E
	buffer_load_dwordx4 a[68:71], v31, s[20:23], 0 offen       // 00000000791C: E05C1000 8085441F
	buffer_load_dwordx4 a[72:75], v32, s[20:23], 0 offen       // 000000007924: E05C1000 80854820
	buffer_load_dwordx4 a[76:79], v33, s[20:23], 0 offen       // 00000000792C: E05C1000 80854C21
	buffer_load_dwordx4 a[80:83], v30, s[20:23], 0 offen offset:1024// 000000007934: E05C1400 8085501E
	buffer_load_dwordx4 a[84:87], v31, s[20:23], 0 offen offset:1024// 00000000793C: E05C1400 8085541F
	buffer_load_dwordx4 a[88:91], v32, s[20:23], 0 offen offset:1024// 000000007944: E05C1400 80855820
	buffer_load_dwordx4 a[92:95], v33, s[20:23], 0 offen offset:1024// 00000000794C: E05C1400 80855C21
	v_lshrrev_b32_e32 v64, 4, v0                               // 000000007954: 20800084
	v_lshlrev_b32_e32 v65, 1, v64                              // 000000007958: 24828081
	v_and_b32_e32 v64, 15, v0                                  // 00000000795C: 2680008F
	v_mul_i32_i24_e32 v64, 0x42, v64                           // 000000007960: 0C8080FF 00000042
	v_add_u32_e32 v65, v64, v65                                // 000000007968: 68828340
	v_lshlrev_b32_e32 v4, 2, v65                               // 00000000796C: 24088282
	s_mul_i32 s60, s7, 32                                      // 000000007970: 923CA007
	v_add_u32_e32 v4, s60, v4                                  // 000000007974: 6808083C
	s_waitcnt vmcnt(16) lgkmcnt(0)                             // 000000007978: BF8C4070
	s_barrier                                                  // 00000000797C: BF8A0000
	ds_read_b64 v[80:81], v4                                   // 000000007980: D8EC0000 50000004
	ds_read_b64 v[84:85], v4 offset:128                        // 000000007988: D8EC0080 54000004
	s_waitcnt lgkmcnt(0)                                       // 000000007990: BF8CC07F
	v_and_b32_e32 v64, 0xffff, v80                             // 000000007994: 2680A0FF 0000FFFF
	v_lshrrev_b32_e32 v65, 16, v80                             // 00000000799C: 2082A090
	v_and_b32_e32 v66, 0xffff, v81                             // 0000000079A0: 2684A2FF 0000FFFF
	v_lshrrev_b32_e32 v67, 16, v81                             // 0000000079A8: 2086A290
	v_cvt_f32_f16_e32 v80, v64                                 // 0000000079AC: 7EA01740
	v_cvt_f32_f16_e32 v81, v65                                 // 0000000079B0: 7EA21741
	v_cvt_f32_f16_e32 v82, v66                                 // 0000000079B4: 7EA41742
	v_cvt_f32_f16_e32 v83, v67                                 // 0000000079B8: 7EA61743
	v_and_b32_e32 v64, 0xffff, v84                             // 0000000079BC: 2680A8FF 0000FFFF
	v_lshrrev_b32_e32 v65, 16, v84                             // 0000000079C4: 2082A890
	v_and_b32_e32 v66, 0xffff, v85                             // 0000000079C8: 2684AAFF 0000FFFF
	v_lshrrev_b32_e32 v67, 16, v85                             // 0000000079D0: 2086AA90
	v_cvt_f32_f16_e32 v84, v64                                 // 0000000079D4: 7EA81740
	v_cvt_f32_f16_e32 v85, v65                                 // 0000000079D8: 7EAA1741
	v_cvt_f32_f16_e32 v86, v66                                 // 0000000079DC: 7EAC1742
	v_cvt_f32_f16_e32 v87, v67                                 // 0000000079E0: 7EAE1743
	v_mov_b32_e32 v48, 0x358637bd                              // 0000000079E4: 7E6002FF 358637BD
	v_max3_f32 v48, |v80|, |v81|, v48                          // 0000000079EC: D1D30330 04C2A350
	v_max3_f32 v48, |v82|, |v83|, v48                          // 0000000079F4: D1D30330 04C2A752
	v_max3_f32 v48, |v84|, |v85|, v48                          // 0000000079FC: D1D30330 04C2AB54
	v_max3_f32 v48, |v86|, |v87|, v48                          // 000000007A04: D1D30330 04C2AF56
	ds_write_b32 v8, v48 offset:16896                          // 000000007A0C: D81A4200 00003008
	s_waitcnt lgkmcnt(0)                                       // 000000007A14: BF8CC07F
	s_barrier                                                  // 000000007A18: BF8A0000
	ds_read_b32 v64, v7 offset:16896                           // 000000007A1C: D86C4200 40000007
	ds_read_b32 v65, v7 offset:16960                           // 000000007A24: D86C4240 41000007
	ds_read_b32 v66, v7 offset:17024                           // 000000007A2C: D86C4280 42000007
	ds_read_b32 v67, v7 offset:17088                           // 000000007A34: D86C42C0 43000007
	ds_read_b32 v68, v7 offset:17152                           // 000000007A3C: D86C4300 44000007
	ds_read_b32 v69, v7 offset:17216                           // 000000007A44: D86C4340 45000007
	ds_read_b32 v70, v7 offset:17280                           // 000000007A4C: D86C4380 46000007
	ds_read_b32 v71, v7 offset:17344                           // 000000007A54: D86C43C0 47000007
	ds_read_b32 v72, v7 offset:17408                           // 000000007A5C: D86C4400 48000007
	ds_read_b32 v73, v7 offset:17472                           // 000000007A64: D86C4440 49000007
	ds_read_b32 v74, v7 offset:17536                           // 000000007A6C: D86C4480 4A000007
	ds_read_b32 v75, v7 offset:17600                           // 000000007A74: D86C44C0 4B000007
	ds_read_b32 v76, v7 offset:17664                           // 000000007A7C: D86C4500 4C000007
	ds_read_b32 v77, v7 offset:17728                           // 000000007A84: D86C4540 4D000007
	ds_read_b32 v78, v7 offset:17792                           // 000000007A8C: D86C4580 4E000007
	ds_read_b32 v79, v7 offset:17856                           // 000000007A94: D86C45C0 4F000007
	s_waitcnt lgkmcnt(0)                                       // 000000007A9C: BF8CC07F
	v_max3_f32 v48, |v64|, |v65|, v48                          // 000000007AA0: D1D30330 04C28340
	v_max3_f32 v48, |v66|, |v67|, v48                          // 000000007AA8: D1D30330 04C28742
	v_max3_f32 v48, |v68|, |v69|, v48                          // 000000007AB0: D1D30330 04C28B44
	v_max3_f32 v48, |v70|, |v71|, v48                          // 000000007AB8: D1D30330 04C28F46
	v_max3_f32 v48, |v72|, |v73|, v48                          // 000000007AC0: D1D30330 04C29348
	v_max3_f32 v48, |v74|, |v75|, v48                          // 000000007AC8: D1D30330 04C2974A
	v_max3_f32 v48, |v76|, |v77|, v48                          // 000000007AD0: D1D30330 04C29B4C
	v_max3_f32 v48, |v78|, |v79|, v48                          // 000000007AD8: D1D30330 04C29F4E
	v_rcp_f32_e32 v48, v48                                     // 000000007AE0: 7E604530
	s_nop 1                                                    // 000000007AE4: BF800001
	v_mul_f32_e32 v48, 0x42fe0000, v48                         // 000000007AE8: 0A6060FF 42FE0000
	v_mul_f32_e32 v80, v48, v80                                // 000000007AF0: 0AA0A130
	v_mul_f32_e32 v81, v48, v81                                // 000000007AF4: 0AA2A330
	v_mul_f32_e32 v82, v48, v82                                // 000000007AF8: 0AA4A530
	v_mul_f32_e32 v83, v48, v83                                // 000000007AFC: 0AA6A730
	v_mul_f32_e32 v84, v48, v84                                // 000000007B00: 0AA8A930
	v_mul_f32_e32 v85, v48, v85                                // 000000007B04: 0AAAAB30
	v_mul_f32_e32 v86, v48, v86                                // 000000007B08: 0AACAD30
	v_mul_f32_e32 v87, v48, v87                                // 000000007B0C: 0AAEAF30
	v_cvt_i32_f32_e32 v80, v80                                 // 000000007B10: 7EA01150
	v_cvt_i32_f32_e32 v81, v81                                 // 000000007B14: 7EA21151
	v_cvt_i32_f32_e32 v82, v82                                 // 000000007B18: 7EA41152
	v_cvt_i32_f32_e32 v83, v83                                 // 000000007B1C: 7EA61153
	v_cvt_i32_f32_e32 v84, v84                                 // 000000007B20: 7EA81154
	v_cvt_i32_f32_e32 v85, v85                                 // 000000007B24: 7EAA1155
	v_cvt_i32_f32_e32 v86, v86                                 // 000000007B28: 7EAC1156
	v_cvt_i32_f32_e32 v87, v87                                 // 000000007B2C: 7EAE1157
	v_rcp_f32_e32 v18, v48                                     // 000000007B30: 7E244530
	v_perm_b32 v80, v81, v80, s53                              // 000000007B34: D1ED0050 00D6A151
	v_perm_b32 v80, v82, v80, s54                              // 000000007B3C: D1ED0050 00DAA152
	v_perm_b32 v80, v83, v80, s55                              // 000000007B44: D1ED0050 00DEA153
	v_perm_b32 v81, v85, v84, s53                              // 000000007B4C: D1ED0051 00D6A955
	v_perm_b32 v81, v86, v81, s54                              // 000000007B54: D1ED0051 00DAA356
	v_perm_b32 v81, v87, v81, s55                              // 000000007B5C: D1ED0051 00DEA357
	ds_write_b32 v10, v80 offset:25088                         // 000000007B64: D81A6200 0000500A
	ds_write_b32 v10, v81 offset:26112                         // 000000007B6C: D81A6600 0000510A
	s_waitcnt lgkmcnt(0)                                       // 000000007B74: BF8CC07F
	s_barrier                                                  // 000000007B78: BF8A0000
	ds_read_b64 v[80:81], v9 offset:25088                      // 000000007B7C: D8EC6200 50000009
	ds_read_b64 v[82:83], v9 offset:25216                      // 000000007B84: D8EC6280 52000009
	ds_read_b64 v[84:85], v9 offset:26112                      // 000000007B8C: D8EC6600 54000009
	ds_read_b64 v[86:87], v9 offset:26240                      // 000000007B94: D8EC6680 56000009
	v_mov_b32_e32 v208, 0                                      // 000000007B9C: 7FA00280
	v_mov_b32_e32 v209, 0                                      // 000000007BA0: 7FA20280
	v_mov_b32_e32 v210, 0                                      // 000000007BA4: 7FA40280
	v_mov_b32_e32 v211, 0                                      // 000000007BA8: 7FA60280
	v_mov_b32_e32 v212, 0                                      // 000000007BAC: 7FA80280
	v_mov_b32_e32 v213, 0                                      // 000000007BB0: 7FAA0280
	v_mov_b32_e32 v214, 0                                      // 000000007BB4: 7FAC0280
	v_mov_b32_e32 v215, 0                                      // 000000007BB8: 7FAE0280
	v_mov_b32_e32 v176, 0                                      // 000000007BBC: 7F600280
	v_mov_b32_e32 v177, 0                                      // 000000007BC0: 7F620280
	v_mov_b32_e32 v178, 0                                      // 000000007BC4: 7F640280
	v_mov_b32_e32 v179, 0                                      // 000000007BC8: 7F660280
	v_mov_b32_e32 v180, 0                                      // 000000007BCC: 7F680280
	v_mov_b32_e32 v181, 0                                      // 000000007BD0: 7F6A0280
	v_mov_b32_e32 v182, 0                                      // 000000007BD4: 7F6C0280
	v_mov_b32_e32 v183, 0                                      // 000000007BD8: 7F6E0280
	ds_read_b64 v[88:89], v4 offset:4224                       // 000000007BDC: D8EC1080 58000004
	ds_read_b64 v[92:93], v4 offset:4352                       // 000000007BE4: D8EC1100 5C000004
	s_waitcnt lgkmcnt(0)                                       // 000000007BEC: BF8CC07F
	v_and_b32_e32 v64, 0xffff, v88                             // 000000007BF0: 2680B0FF 0000FFFF
	v_lshrrev_b32_e32 v65, 16, v88                             // 000000007BF8: 2082B090
	v_and_b32_e32 v66, 0xffff, v89                             // 000000007BFC: 2684B2FF 0000FFFF
	v_lshrrev_b32_e32 v67, 16, v89                             // 000000007C04: 2086B290
	v_cvt_f32_f16_e32 v88, v64                                 // 000000007C08: 7EB01740
	v_cvt_f32_f16_e32 v89, v65                                 // 000000007C0C: 7EB21741
	v_cvt_f32_f16_e32 v90, v66                                 // 000000007C10: 7EB41742
	v_cvt_f32_f16_e32 v91, v67                                 // 000000007C14: 7EB61743
	v_and_b32_e32 v64, 0xffff, v92                             // 000000007C18: 2680B8FF 0000FFFF
	v_lshrrev_b32_e32 v65, 16, v92                             // 000000007C20: 2082B890
	v_and_b32_e32 v66, 0xffff, v93                             // 000000007C24: 2684BAFF 0000FFFF
	v_lshrrev_b32_e32 v67, 16, v93                             // 000000007C2C: 2086BA90
	v_cvt_f32_f16_e32 v92, v64                                 // 000000007C30: 7EB81740
	v_cvt_f32_f16_e32 v93, v65                                 // 000000007C34: 7EBA1741
	v_cvt_f32_f16_e32 v94, v66                                 // 000000007C38: 7EBC1742
	v_cvt_f32_f16_e32 v95, v67                                 // 000000007C3C: 7EBE1743
	v_mov_b32_e32 v48, 0x358637bd                              // 000000007C40: 7E6002FF 358637BD
	v_max3_f32 v48, |v88|, |v89|, v48                          // 000000007C48: D1D30330 04C2B358
	v_max3_f32 v48, |v90|, |v91|, v48                          // 000000007C50: D1D30330 04C2B75A
	v_max3_f32 v48, |v92|, |v93|, v48                          // 000000007C58: D1D30330 04C2BB5C
	v_max3_f32 v48, |v94|, |v95|, v48                          // 000000007C60: D1D30330 04C2BF5E
	ds_write_b32 v8, v48 offset:16896                          // 000000007C68: D81A4200 00003008
	s_waitcnt lgkmcnt(0)                                       // 000000007C70: BF8CC07F
	s_barrier                                                  // 000000007C74: BF8A0000
	ds_read_b32 v64, v7 offset:16896                           // 000000007C78: D86C4200 40000007
	ds_read_b32 v65, v7 offset:16960                           // 000000007C80: D86C4240 41000007
	ds_read_b32 v66, v7 offset:17024                           // 000000007C88: D86C4280 42000007
	ds_read_b32 v67, v7 offset:17088                           // 000000007C90: D86C42C0 43000007
	ds_read_b32 v68, v7 offset:17152                           // 000000007C98: D86C4300 44000007
	ds_read_b32 v69, v7 offset:17216                           // 000000007CA0: D86C4340 45000007
	ds_read_b32 v70, v7 offset:17280                           // 000000007CA8: D86C4380 46000007
	ds_read_b32 v71, v7 offset:17344                           // 000000007CB0: D86C43C0 47000007
	ds_read_b32 v72, v7 offset:17408                           // 000000007CB8: D86C4400 48000007
	ds_read_b32 v73, v7 offset:17472                           // 000000007CC0: D86C4440 49000007
	ds_read_b32 v74, v7 offset:17536                           // 000000007CC8: D86C4480 4A000007
	ds_read_b32 v75, v7 offset:17600                           // 000000007CD0: D86C44C0 4B000007
	ds_read_b32 v76, v7 offset:17664                           // 000000007CD8: D86C4500 4C000007
	ds_read_b32 v77, v7 offset:17728                           // 000000007CE0: D86C4540 4D000007
	ds_read_b32 v78, v7 offset:17792                           // 000000007CE8: D86C4580 4E000007
	ds_read_b32 v79, v7 offset:17856                           // 000000007CF0: D86C45C0 4F000007
	s_waitcnt lgkmcnt(0)                                       // 000000007CF8: BF8CC07F
	v_max3_f32 v48, |v64|, |v65|, v48                          // 000000007CFC: D1D30330 04C28340
	v_max3_f32 v48, |v66|, |v67|, v48                          // 000000007D04: D1D30330 04C28742
	v_max3_f32 v48, |v68|, |v69|, v48                          // 000000007D0C: D1D30330 04C28B44
	v_max3_f32 v48, |v70|, |v71|, v48                          // 000000007D14: D1D30330 04C28F46
	v_max3_f32 v48, |v72|, |v73|, v48                          // 000000007D1C: D1D30330 04C29348
	v_max3_f32 v48, |v74|, |v75|, v48                          // 000000007D24: D1D30330 04C2974A
	v_max3_f32 v48, |v76|, |v77|, v48                          // 000000007D2C: D1D30330 04C29B4C
	v_max3_f32 v48, |v78|, |v79|, v48                          // 000000007D34: D1D30330 04C29F4E
	v_rcp_f32_e32 v48, v48                                     // 000000007D3C: 7E604530
	s_nop 1                                                    // 000000007D40: BF800001
	v_mul_f32_e32 v48, 0x42fe0000, v48                         // 000000007D44: 0A6060FF 42FE0000
	v_mul_f32_e32 v88, v48, v88                                // 000000007D4C: 0AB0B130
	v_mul_f32_e32 v89, v48, v89                                // 000000007D50: 0AB2B330
	v_mul_f32_e32 v90, v48, v90                                // 000000007D54: 0AB4B530
	v_mul_f32_e32 v91, v48, v91                                // 000000007D58: 0AB6B730
	v_mul_f32_e32 v92, v48, v92                                // 000000007D5C: 0AB8B930
	v_mul_f32_e32 v93, v48, v93                                // 000000007D60: 0ABABB30
	v_mul_f32_e32 v94, v48, v94                                // 000000007D64: 0ABCBD30
	v_mul_f32_e32 v95, v48, v95                                // 000000007D68: 0ABEBF30
	v_cvt_i32_f32_e32 v88, v88                                 // 000000007D6C: 7EB01158
	v_cvt_i32_f32_e32 v89, v89                                 // 000000007D70: 7EB21159
	v_cvt_i32_f32_e32 v90, v90                                 // 000000007D74: 7EB4115A
	v_cvt_i32_f32_e32 v91, v91                                 // 000000007D78: 7EB6115B
	v_cvt_i32_f32_e32 v92, v92                                 // 000000007D7C: 7EB8115C
	v_cvt_i32_f32_e32 v93, v93                                 // 000000007D80: 7EBA115D
	v_cvt_i32_f32_e32 v94, v94                                 // 000000007D84: 7EBC115E
	v_cvt_i32_f32_e32 v95, v95                                 // 000000007D88: 7EBE115F
	v_rcp_f32_e32 v19, v48                                     // 000000007D8C: 7E264530
	v_perm_b32 v88, v89, v88, s53                              // 000000007D90: D1ED0058 00D6B159
	v_perm_b32 v88, v90, v88, s54                              // 000000007D98: D1ED0058 00DAB15A
	v_perm_b32 v88, v91, v88, s55                              // 000000007DA0: D1ED0058 00DEB15B
	v_perm_b32 v89, v93, v92, s53                              // 000000007DA8: D1ED0059 00D6B95D
	v_perm_b32 v89, v94, v89, s54                              // 000000007DB0: D1ED0059 00DAB35E
	v_perm_b32 v89, v95, v89, s55                              // 000000007DB8: D1ED0059 00DEB35F
	ds_write_b32 v10, v88 offset:25088                         // 000000007DC0: D81A6200 0000580A
	ds_write_b32 v10, v89 offset:26112                         // 000000007DC8: D81A6600 0000590A
	s_waitcnt lgkmcnt(0)                                       // 000000007DD0: BF8CC07F
	s_barrier                                                  // 000000007DD4: BF8A0000
	ds_read_b64 v[88:89], v9 offset:25088                      // 000000007DD8: D8EC6200 58000009
	ds_read_b64 v[90:91], v9 offset:25216                      // 000000007DE0: D8EC6280 5A000009
	ds_read_b64 v[92:93], v9 offset:26112                      // 000000007DE8: D8EC6600 5C000009
	ds_read_b64 v[94:95], v9 offset:26240                      // 000000007DF0: D8EC6680 5E000009
	v_mov_b32_e32 v216, 0                                      // 000000007DF8: 7FB00280
	v_mov_b32_e32 v217, 0                                      // 000000007DFC: 7FB20280
	v_mov_b32_e32 v218, 0                                      // 000000007E00: 7FB40280
	v_mov_b32_e32 v219, 0                                      // 000000007E04: 7FB60280
	v_mov_b32_e32 v220, 0                                      // 000000007E08: 7FB80280
	v_mov_b32_e32 v221, 0                                      // 000000007E0C: 7FBA0280
	v_mov_b32_e32 v222, 0                                      // 000000007E10: 7FBC0280
	v_mov_b32_e32 v223, 0                                      // 000000007E14: 7FBE0280
	v_mov_b32_e32 v184, 0                                      // 000000007E18: 7F700280
	v_mov_b32_e32 v185, 0                                      // 000000007E1C: 7F720280
	v_mov_b32_e32 v186, 0                                      // 000000007E20: 7F740280
	v_mov_b32_e32 v187, 0                                      // 000000007E24: 7F760280
	v_mov_b32_e32 v188, 0                                      // 000000007E28: 7F780280
	v_mov_b32_e32 v189, 0                                      // 000000007E2C: 7F7A0280
	v_mov_b32_e32 v190, 0                                      // 000000007E30: 7F7C0280
	v_mov_b32_e32 v191, 0                                      // 000000007E34: 7F7E0280
	s_waitcnt vmcnt(8) lgkmcnt(0)                              // 000000007E38: BF8C0078
	s_barrier                                                  // 000000007E3C: BF8A0000
	s_cmp_lt_u32 s73, 16                                       // 000000007E40: BF0A9049
	s_cbranch_scc1 label_2D2D                                  // 000000007E44: BF85161B
	s_cmp_lt_i32 s7, 2                                         // 000000007E48: BF048207
	s_cbranch_scc0 label_2222                                  // 000000007E4C: BF840B0E

0000000000007e50 <label_1714>:
	s_waitcnt vmcnt(8) lgkmcnt(0)                              // 000000007E50: BF8C0078
	v_mul_u32_u24_dpp v64, v17, v54 row_newbcast:0 row_mask:0xf bank_mask:0xf// 000000007E54: 10806CFA FF015011
	v_mul_u32_u24_dpp v65, v17, v54 row_newbcast:4 row_mask:0xf bank_mask:0xf// 000000007E5C: 10826CFA FF015411
	v_mul_u32_u24_dpp v66, v17, v54 row_newbcast:8 row_mask:0xf bank_mask:0xf// 000000007E64: 10846CFA FF015811
	v_mul_u32_u24_dpp v67, v17, v54 row_newbcast:12 row_mask:0xf bank_mask:0xf// 000000007E6C: 10866CFA FF015C11
	v_add_u32_e32 v26, v64, v5                                 // 000000007E74: 68340B40
	v_add_u32_e32 v27, v65, v5                                 // 000000007E78: 68360B41
	v_add_u32_e32 v28, v66, v5                                 // 000000007E7C: 68380B42
	v_add_u32_e32 v29, v67, v5                                 // 000000007E80: 683A0B43
	v_mul_u32_u24_dpp v64, v17, v63 quad_perm:[0,0,0,0] row_mask:0xf bank_mask:0xf// 000000007E84: 10807EFA FF000011
	v_add_u32_e32 v3, v64, v59                                 // 000000007E8C: 68067740
	v_mul_u32_u24_dpp v64, v17, v63 quad_perm:[0,0,0,0] row_mask:0xf bank_mask:0xf// 000000007E90: 10807EFA FF000011
	v_add_u32_e32 v56, v64, v60                                // 000000007E98: 68707940
	v_mfma_i32_16x16x32_i8 v[112:115], a[0:1], v[80:81], 0     // 000000007E9C: D3D70070 0A02A100
	v_mfma_i32_16x16x32_i8 v[112:115], a[2:3], v[82:83], v[112:115]// 000000007EA4: D3D70070 0DC2A502
	buffer_load_dwordx4 a[32:35], v26, s[16:19], 0 offen       // 000000007EAC: E05C1000 8084201A
	v_mfma_i32_16x16x32_i8 v[112:115], a[4:5], v[84:85], v[112:115]// 000000007EB4: D3D70070 0DC2A904
	v_mfma_i32_16x16x32_i8 v[112:115], a[6:7], v[86:87], v[112:115]// 000000007EBC: D3D70070 0DC2AD06
	buffer_load_dword v16, v1, s[24:27], 0 offen               // 000000007EC4: E0501000 80061001
	v_mfma_i32_16x16x32_i8 v[116:119], a[8:9], v[80:81], 0     // 000000007ECC: D3D70074 0A02A108
	v_mfma_i32_16x16x32_i8 v[116:119], a[10:11], v[82:83], v[116:119]// 000000007ED4: D3D70074 0DD2A50A
	buffer_load_dwordx4 a[36:39], v26, s[16:19], 0 offen offset:1024// 000000007EDC: E05C1400 8084241A
	v_mfma_i32_16x16x32_i8 v[116:119], a[12:13], v[84:85], v[116:119]// 000000007EE4: D3D70074 0DD2A90C
	v_mfma_i32_16x16x32_i8 v[116:119], a[14:15], v[86:87], v[116:119]// 000000007EEC: D3D70074 0DD2AD0E
	v_mfma_i32_16x16x32_i8 v[120:123], a[16:17], v[80:81], 0   // 000000007EF4: D3D70078 0A02A110
	v_mfma_i32_16x16x32_i8 v[120:123], a[18:19], v[82:83], v[120:123]// 000000007EFC: D3D70078 0DE2A512
	buffer_load_dwordx4 a[40:43], v27, s[16:19], 0 offen       // 000000007F04: E05C1000 8084281B
	v_mfma_i32_16x16x32_i8 v[120:123], a[20:21], v[84:85], v[120:123]// 000000007F0C: D3D70078 0DE2A914
	v_mfma_i32_16x16x32_i8 v[120:123], a[22:23], v[86:87], v[120:123]// 000000007F14: D3D70078 0DE2AD16
	v_mfma_i32_16x16x32_i8 v[124:127], a[24:25], v[80:81], 0   // 000000007F1C: D3D7007C 0A02A118
	v_mfma_i32_16x16x32_i8 v[124:127], a[26:27], v[82:83], v[124:127]// 000000007F24: D3D7007C 0DF2A51A
	buffer_load_dwordx4 a[44:47], v27, s[16:19], 0 offen offset:1024// 000000007F2C: E05C1400 80842C1B
	v_mfma_i32_16x16x32_i8 v[124:127], a[28:29], v[84:85], v[124:127]// 000000007F34: D3D7007C 0DF2A91C
	v_mfma_i32_16x16x32_i8 v[124:127], a[30:31], v[86:87], v[124:127]// 000000007F3C: D3D7007C 0DF2AD1E
	v_mfma_i32_16x16x32_i8 v[128:131], a[0:1], v[88:89], 0     // 000000007F44: D3D70080 0A02B100
	v_mfma_i32_16x16x32_i8 v[128:131], a[2:3], v[90:91], v[128:131]// 000000007F4C: D3D70080 0E02B502
	v_mfma_i32_16x16x32_i8 v[128:131], a[4:5], v[92:93], v[128:131]// 000000007F54: D3D70080 0E02B904
	v_mfma_i32_16x16x32_i8 v[128:131], a[6:7], v[94:95], v[128:131]// 000000007F5C: D3D70080 0E02BD06
	v_mfma_i32_16x16x32_i8 v[132:135], a[8:9], v[88:89], 0     // 000000007F64: D3D70084 0A02B108
	v_mfma_i32_16x16x32_i8 v[132:135], a[10:11], v[90:91], v[132:135]// 000000007F6C: D3D70084 0E12B50A
	v_mfma_i32_16x16x32_i8 v[132:135], a[12:13], v[92:93], v[132:135]// 000000007F74: D3D70084 0E12B90C
	v_mfma_i32_16x16x32_i8 v[132:135], a[14:15], v[94:95], v[132:135]// 000000007F7C: D3D70084 0E12BD0E
	v_mfma_i32_16x16x32_i8 v[136:139], a[16:17], v[88:89], 0   // 000000007F84: D3D70088 0A02B110
	v_mfma_i32_16x16x32_i8 v[136:139], a[18:19], v[90:91], v[136:139]// 000000007F8C: D3D70088 0E22B512
	v_mfma_i32_16x16x32_i8 v[136:139], a[20:21], v[92:93], v[136:139]// 000000007F94: D3D70088 0E22B914
	v_mfma_i32_16x16x32_i8 v[136:139], a[22:23], v[94:95], v[136:139]// 000000007F9C: D3D70088 0E22BD16
	v_mfma_i32_16x16x32_i8 v[140:143], a[24:25], v[88:89], 0   // 000000007FA4: D3D7008C 0A02B118
	v_mfma_i32_16x16x32_i8 v[140:143], a[26:27], v[90:91], v[140:143]// 000000007FAC: D3D7008C 0E32B51A
	v_mfma_i32_16x16x32_i8 v[140:143], a[28:29], v[92:93], v[140:143]// 000000007FB4: D3D7008C 0E32B91C
	v_mfma_i32_16x16x32_i8 v[140:143], a[30:31], v[94:95], v[140:143]// 000000007FBC: D3D7008C 0E32BD1E
	buffer_load_dword v43, v3, s[32:35], 0 offen               // 000000007FC4: E0501000 80082B03
	v_mov_b32_dpp v64, v42 row_shr:4 row_mask:0xf bank_mask:0xf// 000000007FCC: 7E8002FA FF01142A
	v_mov_b32_dpp v65, v42 row_shl:4 row_mask:0xf bank_mask:0xf// 000000007FD4: 7E8202FA FF01042A
	v_cndmask_b32_e64 v248, v42, v64, s[44:45]                 // 000000007FDC: D10000F8 00B2812A
	v_cndmask_b32_e64 v249, v65, v42, s[44:45]                 // 000000007FE4: D10000F9 00B25541
	v_mov_b32_dpp v64, v248 row_shr:8 row_mask:0xf bank_mask:0xf// 000000007FEC: 7E8002FA FF0118F8
	v_mov_b32_dpp v65, v248 row_shl:8 row_mask:0xf bank_mask:0xf// 000000007FF4: 7E8202FA FF0108F8
	v_mov_b32_dpp v66, v249 row_shr:8 row_mask:0xf bank_mask:0xf// 000000007FFC: 7E8402FA FF0118F9
	v_mov_b32_dpp v67, v249 row_shl:8 row_mask:0xf bank_mask:0xf// 000000008004: 7E8602FA FF0108F9
	v_mov_b32_e32 v68, v248                                    // 00000000800C: 7E8803F8
	v_mov_b32_e32 v69, v249                                    // 000000008010: 7E8A03F9
	v_cndmask_b32_e64 v248, v68, v64, s[42:43]                 // 000000008014: D10000F8 00AA8144
	v_cndmask_b32_e64 v250, v68, v65, s[78:79]                 // 00000000801C: D10000FA 013A8344
	v_cndmask_b32_e64 v249, v69, v66, s[42:43]                 // 000000008024: D10000F9 00AA8545
	v_cndmask_b32_e64 v251, v69, v67, s[78:79]                 // 00000000802C: D10000FB 013A8745
	v_mov_b32_dpp v64, v57 row_shr:4 row_mask:0xf bank_mask:0xf// 000000008034: 7E8002FA FF011439
	v_mov_b32_dpp v65, v57 row_shl:4 row_mask:0xf bank_mask:0xf// 00000000803C: 7E8202FA FF010439
	v_cndmask_b32_e64 v252, v57, v64, s[44:45]                 // 000000008044: D10000FC 00B28139
	v_cndmask_b32_e64 v253, v65, v57, s[44:45]                 // 00000000804C: D10000FD 00B27341
	v_mov_b32_dpp v64, v252 row_shr:8 row_mask:0xf bank_mask:0xf// 000000008054: 7E8002FA FF0118FC
	v_mov_b32_dpp v65, v252 row_shl:8 row_mask:0xf bank_mask:0xf// 00000000805C: 7E8202FA FF0108FC
	v_mov_b32_dpp v66, v253 row_shr:8 row_mask:0xf bank_mask:0xf// 000000008064: 7E8402FA FF0118FD
	v_mov_b32_dpp v67, v253 row_shl:8 row_mask:0xf bank_mask:0xf// 00000000806C: 7E8602FA FF0108FD
	v_mov_b32_e32 v68, v252                                    // 000000008074: 7E8803FC
	v_mov_b32_e32 v69, v253                                    // 000000008078: 7E8A03FD
	v_cndmask_b32_e64 v252, v68, v64, s[42:43]                 // 00000000807C: D10000FC 00AA8144
	v_cndmask_b32_e64 v254, v68, v65, s[78:79]                 // 000000008084: D10000FE 013A8344
	v_cndmask_b32_e64 v253, v69, v66, s[42:43]                 // 00000000808C: D10000FD 00AA8545
	v_cndmask_b32_e64 v255, v69, v67, s[78:79]                 // 000000008094: D10000FF 013A8745
	buffer_load_dword v58, v56, s[36:39], 0 offen              // 00000000809C: E0501000 80093A38
	v_cvt_f32_i32_e32 v112, v112                               // 0000000080A4: 7EE00B70
	v_cvt_f32_i32_e32 v113, v113                               // 0000000080A8: 7EE20B71
	v_cvt_f32_i32_e32 v114, v114                               // 0000000080AC: 7EE40B72
	v_cvt_f32_i32_e32 v115, v115                               // 0000000080B0: 7EE60B73
	v_cvt_f32_i32_e32 v116, v116                               // 0000000080B4: 7EE80B74
	v_cvt_f32_i32_e32 v117, v117                               // 0000000080B8: 7EEA0B75
	v_cvt_f32_i32_e32 v118, v118                               // 0000000080BC: 7EEC0B76
	v_cvt_f32_i32_e32 v119, v119                               // 0000000080C0: 7EEE0B77
	v_cvt_f32_i32_e32 v120, v120                               // 0000000080C4: 7EF00B78
	v_cvt_f32_i32_e32 v121, v121                               // 0000000080C8: 7EF20B79
	v_cvt_f32_i32_e32 v122, v122                               // 0000000080CC: 7EF40B7A
	v_cvt_f32_i32_e32 v123, v123                               // 0000000080D0: 7EF60B7B
	v_cvt_f32_i32_e32 v124, v124                               // 0000000080D4: 7EF80B7C
	v_cvt_f32_i32_e32 v125, v125                               // 0000000080D8: 7EFA0B7D
	v_cvt_f32_i32_e32 v126, v126                               // 0000000080DC: 7EFC0B7E
	v_cvt_f32_i32_e32 v127, v127                               // 0000000080E0: 7EFE0B7F
	v_mul_f32_e32 v112, v18, v112                              // 0000000080E4: 0AE0E112
	v_mul_f32_e32 v113, v18, v113                              // 0000000080E8: 0AE2E312
	v_mul_f32_e32 v114, v18, v114                              // 0000000080EC: 0AE4E512
	v_mul_f32_e32 v115, v18, v115                              // 0000000080F0: 0AE6E712
	v_mul_f32_e32 v116, v18, v116                              // 0000000080F4: 0AE8E912
	v_mul_f32_e32 v117, v18, v117                              // 0000000080F8: 0AEAEB12
	v_mul_f32_e32 v118, v18, v118                              // 0000000080FC: 0AECED12
	v_mul_f32_e32 v119, v18, v119                              // 000000008100: 0AEEEF12
	v_mul_f32_e32 v120, v18, v120                              // 000000008104: 0AF0F112
	v_mul_f32_e32 v121, v18, v121                              // 000000008108: 0AF2F312
	v_mul_f32_e32 v122, v18, v122                              // 00000000810C: 0AF4F512
	v_mul_f32_e32 v123, v18, v123                              // 000000008110: 0AF6F712
	v_mul_f32_e32 v124, v18, v124                              // 000000008114: 0AF8F912
	v_mul_f32_e32 v125, v18, v125                              // 000000008118: 0AFAFB12
	v_mul_f32_e32 v126, v18, v126                              // 00000000811C: 0AFCFD12
	v_mul_f32_e32 v127, v18, v127                              // 000000008120: 0AFEFF12
	buffer_load_dwordx4 a[48:51], v28, s[16:19], 0 offen       // 000000008124: E05C1000 8084301C
	v_mul_f32_dpp v112, v248, v112 quad_perm:[0,0,0,0] row_mask:0xf bank_mask:0xf// 00000000812C: 0AE0E0FA FF0000F8
	v_mul_f32_dpp v113, v248, v113 quad_perm:[1,1,1,1] row_mask:0xf bank_mask:0xf// 000000008134: 0AE2E2FA FF0055F8
	v_mul_f32_dpp v114, v248, v114 quad_perm:[2,2,2,2] row_mask:0xf bank_mask:0xf// 00000000813C: 0AE4E4FA FF00AAF8
	v_mul_f32_dpp v115, v248, v115 quad_perm:[3,3,3,3] row_mask:0xf bank_mask:0xf// 000000008144: 0AE6E6FA FF00FFF8
	v_mul_f32_dpp v116, v249, v116 quad_perm:[0,0,0,0] row_mask:0xf bank_mask:0xf// 00000000814C: 0AE8E8FA FF0000F9
	v_mul_f32_dpp v117, v249, v117 quad_perm:[1,1,1,1] row_mask:0xf bank_mask:0xf// 000000008154: 0AEAEAFA FF0055F9
	v_mul_f32_dpp v118, v249, v118 quad_perm:[2,2,2,2] row_mask:0xf bank_mask:0xf// 00000000815C: 0AECECFA FF00AAF9
	v_mul_f32_dpp v119, v249, v119 quad_perm:[3,3,3,3] row_mask:0xf bank_mask:0xf// 000000008164: 0AEEEEFA FF00FFF9
	v_mul_f32_dpp v120, v250, v120 quad_perm:[0,0,0,0] row_mask:0xf bank_mask:0xf// 00000000816C: 0AF0F0FA FF0000FA
	v_mul_f32_dpp v121, v250, v121 quad_perm:[1,1,1,1] row_mask:0xf bank_mask:0xf// 000000008174: 0AF2F2FA FF0055FA
	v_mul_f32_dpp v122, v250, v122 quad_perm:[2,2,2,2] row_mask:0xf bank_mask:0xf// 00000000817C: 0AF4F4FA FF00AAFA
	v_mul_f32_dpp v123, v250, v123 quad_perm:[3,3,3,3] row_mask:0xf bank_mask:0xf// 000000008184: 0AF6F6FA FF00FFFA
	v_mul_f32_dpp v124, v251, v124 quad_perm:[0,0,0,0] row_mask:0xf bank_mask:0xf// 00000000818C: 0AF8F8FA FF0000FB
	v_mul_f32_dpp v125, v251, v125 quad_perm:[1,1,1,1] row_mask:0xf bank_mask:0xf// 000000008194: 0AFAFAFA FF0055FB
	v_mul_f32_dpp v126, v251, v126 quad_perm:[2,2,2,2] row_mask:0xf bank_mask:0xf// 00000000819C: 0AFCFCFA FF00AAFB
	v_mul_f32_dpp v127, v251, v127 quad_perm:[3,3,3,3] row_mask:0xf bank_mask:0xf// 0000000081A4: 0AFEFEFA FF00FFFB
	buffer_load_dwordx4 a[52:55], v28, s[16:19], 0 offen offset:1024// 0000000081AC: E05C1400 8084341C
	s_cmp_le_i32 s90, s89                                      // 0000000081B4: BF05595A
	s_cbranch_scc1 label_1860                                  // 0000000081B8: BF850071
	v_mov_b32_e32 v66, 0xff800000                              // 0000000081BC: 7E8402FF FF800000
	s_mov_b32 s60, s90                                         // 0000000081C4: BEBC005A
	s_add_u32 s61, s89, 0xff                                   // 0000000081C8: 803DFF59 000000FF
	v_mov_b32_e32 v64, s61                                     // 0000000081D0: 7E80023D
	v_lshrrev_b32_e32 v240, 4, v0                              // 0000000081D4: 21E00084
	v_mul_i32_i24_e32 v240, 4, v240                            // 0000000081D8: 0DE1E084
	v_add_u32_e32 v240, s60, v240                              // 0000000081DC: 69E1E03C
	s_mov_b32 s61, 0                                           // 0000000081E0: BEBD0080
	s_mul_i32 s60, 16, s7                                      // 0000000081E4: 923C0790
	v_sub_u32_e64 v240, v240, s61                              // 0000000081E8: D13500F0 00007BF0
	v_add_u32_e32 v240, s60, v240                              // 0000000081F0: 69E1E03C
	v_add_u32_e32 v241, 1, v240                                // 0000000081F4: 69E3E081
	v_add_u32_e32 v242, 2, v240                                // 0000000081F8: 69E5E082
	v_add_u32_e32 v243, 3, v240                                // 0000000081FC: 69E7E083
	v_cmp_le_u32_e64 s[40:41], v240, v64                       // 000000008200: D0CB0028 000281F0
	v_add_u32_e32 v240, 64, v240                               // 000000008208: 69E1E0C0
	s_nop 0                                                    // 00000000820C: BF800000
	v_cndmask_b32_e64 v112, v66, v112, s[40:41]                // 000000008210: D1000070 00A2E142
	v_cmp_le_u32_e64 s[40:41], v241, v64                       // 000000008218: D0CB0028 000281F1
	v_add_u32_e32 v241, 64, v241                               // 000000008220: 69E3E2C0
	s_nop 0                                                    // 000000008224: BF800000
	v_cndmask_b32_e64 v113, v66, v113, s[40:41]                // 000000008228: D1000071 00A2E342
	v_cmp_le_u32_e64 s[40:41], v242, v64                       // 000000008230: D0CB0028 000281F2
	v_add_u32_e32 v242, 64, v242                               // 000000008238: 69E5E4C0
	s_nop 0                                                    // 00000000823C: BF800000
	v_cndmask_b32_e64 v114, v66, v114, s[40:41]                // 000000008240: D1000072 00A2E542
	v_cmp_le_u32_e64 s[40:41], v243, v64                       // 000000008248: D0CB0028 000281F3
	v_add_u32_e32 v243, 64, v243                               // 000000008250: 69E7E6C0
	s_nop 0                                                    // 000000008254: BF800000
	v_cndmask_b32_e64 v115, v66, v115, s[40:41]                // 000000008258: D1000073 00A2E742
	v_cmp_le_u32_e64 s[40:41], v240, v64                       // 000000008260: D0CB0028 000281F0
	v_add_u32_e32 v240, 64, v240                               // 000000008268: 69E1E0C0
	s_nop 0                                                    // 00000000826C: BF800000
	v_cndmask_b32_e64 v116, v66, v116, s[40:41]                // 000000008270: D1000074 00A2E942
	v_cmp_le_u32_e64 s[40:41], v241, v64                       // 000000008278: D0CB0028 000281F1
	v_add_u32_e32 v241, 64, v241                               // 000000008280: 69E3E2C0
	s_nop 0                                                    // 000000008284: BF800000
	v_cndmask_b32_e64 v117, v66, v117, s[40:41]                // 000000008288: D1000075 00A2EB42
	v_cmp_le_u32_e64 s[40:41], v242, v64                       // 000000008290: D0CB0028 000281F2
	v_add_u32_e32 v242, 64, v242                               // 000000008298: 69E5E4C0
	s_nop 0                                                    // 00000000829C: BF800000
	v_cndmask_b32_e64 v118, v66, v118, s[40:41]                // 0000000082A0: D1000076 00A2ED42
	v_cmp_le_u32_e64 s[40:41], v243, v64                       // 0000000082A8: D0CB0028 000281F3
	v_add_u32_e32 v243, 64, v243                               // 0000000082B0: 69E7E6C0
	s_nop 0                                                    // 0000000082B4: BF800000
	v_cndmask_b32_e64 v119, v66, v119, s[40:41]                // 0000000082B8: D1000077 00A2EF42
	v_cmp_le_u32_e64 s[40:41], v240, v64                       // 0000000082C0: D0CB0028 000281F0
	v_add_u32_e32 v240, 64, v240                               // 0000000082C8: 69E1E0C0
	s_nop 0                                                    // 0000000082CC: BF800000
	v_cndmask_b32_e64 v120, v66, v120, s[40:41]                // 0000000082D0: D1000078 00A2F142
	v_cmp_le_u32_e64 s[40:41], v241, v64                       // 0000000082D8: D0CB0028 000281F1
	v_add_u32_e32 v241, 64, v241                               // 0000000082E0: 69E3E2C0
	s_nop 0                                                    // 0000000082E4: BF800000
	v_cndmask_b32_e64 v121, v66, v121, s[40:41]                // 0000000082E8: D1000079 00A2F342
	v_cmp_le_u32_e64 s[40:41], v242, v64                       // 0000000082F0: D0CB0028 000281F2
	v_add_u32_e32 v242, 64, v242                               // 0000000082F8: 69E5E4C0
	s_nop 0                                                    // 0000000082FC: BF800000
	v_cndmask_b32_e64 v122, v66, v122, s[40:41]                // 000000008300: D100007A 00A2F542
	v_cmp_le_u32_e64 s[40:41], v243, v64                       // 000000008308: D0CB0028 000281F3
	v_add_u32_e32 v243, 64, v243                               // 000000008310: 69E7E6C0
	s_nop 0                                                    // 000000008314: BF800000
	v_cndmask_b32_e64 v123, v66, v123, s[40:41]                // 000000008318: D100007B 00A2F742
	v_cmp_le_u32_e64 s[40:41], v240, v64                       // 000000008320: D0CB0028 000281F0
	v_add_u32_e32 v240, 64, v240                               // 000000008328: 69E1E0C0
	s_nop 0                                                    // 00000000832C: BF800000
	v_cndmask_b32_e64 v124, v66, v124, s[40:41]                // 000000008330: D100007C 00A2F942
	v_cmp_le_u32_e64 s[40:41], v241, v64                       // 000000008338: D0CB0028 000281F1
	v_add_u32_e32 v241, 64, v241                               // 000000008340: 69E3E2C0
	s_nop 0                                                    // 000000008344: BF800000
	v_cndmask_b32_e64 v125, v66, v125, s[40:41]                // 000000008348: D100007D 00A2FB42
	v_cmp_le_u32_e64 s[40:41], v242, v64                       // 000000008350: D0CB0028 000281F2
	v_add_u32_e32 v242, 64, v242                               // 000000008358: 69E5E4C0
	s_nop 0                                                    // 00000000835C: BF800000
	v_cndmask_b32_e64 v126, v66, v126, s[40:41]                // 000000008360: D100007E 00A2FD42
	v_cmp_le_u32_e64 s[40:41], v243, v64                       // 000000008368: D0CB0028 000281F3
	v_add_u32_e32 v243, 64, v243                               // 000000008370: 69E7E6C0
	s_nop 0                                                    // 000000008374: BF800000
	v_cndmask_b32_e64 v127, v66, v127, s[40:41]                // 000000008378: D100007F 00A2FF42

0000000000008380 <label_1860>:
	v_mov_b32_e32 v48, v112                                    // 000000008380: 7E600370
	v_max3_f32 v48, v112, v113, v48                            // 000000008384: D1D30030 04C2E370
	v_max3_f32 v48, v114, v115, v48                            // 00000000838C: D1D30030 04C2E772
	v_max3_f32 v48, v116, v117, v48                            // 000000008394: D1D30030 04C2EB74
	v_max3_f32 v48, v118, v119, v48                            // 00000000839C: D1D30030 04C2EF76
	v_max3_f32 v48, v120, v121, v48                            // 0000000083A4: D1D30030 04C2F378
	v_max3_f32 v48, v122, v123, v48                            // 0000000083AC: D1D30030 04C2F77A
	v_max3_f32 v48, v124, v125, v48                            // 0000000083B4: D1D30030 04C2FB7C
	v_max3_f32 v48, v126, v127, v48                            // 0000000083BC: D1D30030 04C2FF7E
	ds_write_b32 v8, v48 offset:16896                          // 0000000083C4: D81A4200 00003008
	buffer_load_dwordx4 a[56:59], v29, s[16:19], 0 offen       // 0000000083CC: E05C1000 8084381D
	v_mul_u32_u24_dpp v64, v17, v54 row_newbcast:1 row_mask:0xf bank_mask:0xf// 0000000083D4: 10806CFA FF015111
	v_mul_u32_u24_dpp v65, v17, v54 row_newbcast:5 row_mask:0xf bank_mask:0xf// 0000000083DC: 10826CFA FF015511
	v_mul_u32_u24_dpp v66, v17, v54 row_newbcast:9 row_mask:0xf bank_mask:0xf// 0000000083E4: 10846CFA FF015911
	v_mul_u32_u24_dpp v67, v17, v54 row_newbcast:13 row_mask:0xf bank_mask:0xf// 0000000083EC: 10866CFA FF015D11
	v_add_u32_e32 v34, v64, v6                                 // 0000000083F4: 68440D40
	v_add_u32_e32 v35, v65, v6                                 // 0000000083F8: 68460D41
	v_add_u32_e32 v36, v66, v6                                 // 0000000083FC: 68480D42
	v_add_u32_e32 v37, v67, v6                                 // 000000008400: 684A0D43
	v_mul_f32_e32 v208, v49, v208                              // 000000008404: 0BA1A131
	v_mul_f32_e32 v209, v49, v209                              // 000000008408: 0BA3A331
	v_mul_f32_e32 v210, v49, v210                              // 00000000840C: 0BA5A531
	v_mul_f32_e32 v211, v49, v211                              // 000000008410: 0BA7A731
	v_mul_f32_e32 v212, v49, v212                              // 000000008414: 0BA9A931
	v_mul_f32_e32 v213, v49, v213                              // 000000008418: 0BABAB31
	v_mul_f32_e32 v214, v49, v214                              // 00000000841C: 0BADAD31
	v_mul_f32_e32 v215, v49, v215                              // 000000008420: 0BAFAF31
	s_waitcnt lgkmcnt(0)                                       // 000000008424: BF8CC07F
	s_barrier                                                  // 000000008428: BF8A0000
	ds_read_b32 v64, v7 offset:16896                           // 00000000842C: D86C4200 40000007
	ds_read_b32 v65, v7 offset:16960                           // 000000008434: D86C4240 41000007
	ds_read_b32 v66, v7 offset:17024                           // 00000000843C: D86C4280 42000007
	ds_read_b32 v67, v7 offset:17088                           // 000000008444: D86C42C0 43000007
	ds_read_b32 v68, v7 offset:17152                           // 00000000844C: D86C4300 44000007
	ds_read_b32 v69, v7 offset:17216                           // 000000008454: D86C4340 45000007
	ds_read_b32 v70, v7 offset:17280                           // 00000000845C: D86C4380 46000007
	ds_read_b32 v71, v7 offset:17344                           // 000000008464: D86C43C0 47000007
	ds_read_b32 v72, v7 offset:17408                           // 00000000846C: D86C4400 48000007
	ds_read_b32 v73, v7 offset:17472                           // 000000008474: D86C4440 49000007
	ds_read_b32 v74, v7 offset:17536                           // 00000000847C: D86C4480 4A000007
	ds_read_b32 v75, v7 offset:17600                           // 000000008484: D86C44C0 4B000007
	ds_read_b32 v76, v7 offset:17664                           // 00000000848C: D86C4500 4C000007
	ds_read_b32 v77, v7 offset:17728                           // 000000008494: D86C4540 4D000007
	ds_read_b32 v78, v7 offset:17792                           // 00000000849C: D86C4580 4E000007
	ds_read_b32 v79, v7 offset:17856                           // 0000000084A4: D86C45C0 4F000007
	buffer_load_dwordx4 a[60:63], v29, s[16:19], 0 offen offset:1024// 0000000084AC: E05C1400 80843C1D
	v_cvt_f32_i32_e32 v176, v176                               // 0000000084B4: 7F600BB0
	v_cvt_f32_i32_e32 v177, v177                               // 0000000084B8: 7F620BB1
	v_cvt_f32_i32_e32 v178, v178                               // 0000000084BC: 7F640BB2
	v_cvt_f32_i32_e32 v179, v179                               // 0000000084C0: 7F660BB3
	v_cvt_f32_i32_e32 v180, v180                               // 0000000084C4: 7F680BB4
	v_cvt_f32_i32_e32 v181, v181                               // 0000000084C8: 7F6A0BB5
	v_cvt_f32_i32_e32 v182, v182                               // 0000000084CC: 7F6C0BB6
	v_cvt_f32_i32_e32 v183, v183                               // 0000000084D0: 7F6E0BB7
	v_mul_f32_e32 v176, v44, v176                              // 0000000084D4: 0B61612C
	v_mul_f32_e32 v177, v44, v177                              // 0000000084D8: 0B63632C
	v_mul_f32_e32 v178, v44, v178                              // 0000000084DC: 0B65652C
	v_mul_f32_e32 v179, v44, v179                              // 0000000084E0: 0B67672C
	v_mul_f32_e32 v180, v44, v180                              // 0000000084E4: 0B69692C
	v_mul_f32_e32 v181, v44, v181                              // 0000000084E8: 0B6B6B2C
	v_mul_f32_e32 v182, v44, v182                              // 0000000084EC: 0B6D6D2C
	v_mul_f32_e32 v183, v44, v183                              // 0000000084F0: 0B6F6F2C
	s_waitcnt lgkmcnt(0)                                       // 0000000084F4: BF8CC07F
	v_max3_f32 v48, v64, v65, v48                              // 0000000084F8: D1D30030 04C28340
	v_max3_f32 v48, v66, v67, v48                              // 000000008500: D1D30030 04C28742
	v_max3_f32 v48, v68, v69, v48                              // 000000008508: D1D30030 04C28B44
	v_max3_f32 v48, v70, v71, v48                              // 000000008510: D1D30030 04C28F46
	v_max3_f32 v48, v72, v73, v48                              // 000000008518: D1D30030 04C29348
	v_max3_f32 v48, v74, v75, v48                              // 000000008520: D1D30030 04C2974A
	v_max3_f32 v48, v76, v77, v48                              // 000000008528: D1D30030 04C29B4C
	v_max3_f32 v48, v78, v79, v48                              // 000000008530: D1D30030 04C29F4E
	buffer_load_dwordx4 a[96:99], v34, s[20:23], 0 offen       // 000000008538: E05C1000 80856022
	v_mov_b32_e32 v64, 0xff800000                              // 000000008540: 7E8002FF FF800000
	v_cmp_eq_u32_e64 s[40:41], v64, v11                        // 000000008548: D0CA0028 00021740
	s_nop 1                                                    // 000000008550: BF800001
	v_max_f32_e32 v15, v48, v11                                // 000000008554: 161E1730
	v_mul_f32_e32 v53, s64, v15                                // 000000008558: 0A6A1E40
	v_fma_f32 v112, v112, s64, -v53                            // 00000000855C: D1CB0070 84D48170
	v_fma_f32 v113, v113, s64, -v53                            // 000000008564: D1CB0071 84D48171
	v_fma_f32 v114, v114, s64, -v53                            // 00000000856C: D1CB0072 84D48172
	v_fma_f32 v115, v115, s64, -v53                            // 000000008574: D1CB0073 84D48173
	v_fma_f32 v116, v116, s64, -v53                            // 00000000857C: D1CB0074 84D48174
	v_fma_f32 v117, v117, s64, -v53                            // 000000008584: D1CB0075 84D48175
	v_fma_f32 v118, v118, s64, -v53                            // 00000000858C: D1CB0076 84D48176
	v_fma_f32 v119, v119, s64, -v53                            // 000000008594: D1CB0077 84D48177
	v_fma_f32 v120, v120, s64, -v53                            // 00000000859C: D1CB0078 84D48178
	v_fma_f32 v121, v121, s64, -v53                            // 0000000085A4: D1CB0079 84D48179
	v_fma_f32 v122, v122, s64, -v53                            // 0000000085AC: D1CB007A 84D4817A
	v_fma_f32 v123, v123, s64, -v53                            // 0000000085B4: D1CB007B 84D4817B
	v_fma_f32 v124, v124, s64, -v53                            // 0000000085BC: D1CB007C 84D4817C
	v_fma_f32 v125, v125, s64, -v53                            // 0000000085C4: D1CB007D 84D4817D
	v_fma_f32 v126, v126, s64, -v53                            // 0000000085CC: D1CB007E 84D4817E
	v_fma_f32 v127, v127, s64, -v53                            // 0000000085D4: D1CB007F 84D4817F
	buffer_load_dwordx4 a[100:103], v35, s[20:23], 0 offen     // 0000000085DC: E05C1000 80856423
	v_exp_f32_e32 v112, v112                                   // 0000000085E4: 7EE04170
	v_exp_f32_e32 v113, v113                                   // 0000000085E8: 7EE24171
	v_exp_f32_e32 v114, v114                                   // 0000000085EC: 7EE44172
	v_exp_f32_e32 v115, v115                                   // 0000000085F0: 7EE64173
	v_exp_f32_e32 v116, v116                                   // 0000000085F4: 7EE84174
	v_exp_f32_e32 v117, v117                                   // 0000000085F8: 7EEA4175
	v_exp_f32_e32 v118, v118                                   // 0000000085FC: 7EEC4176
	v_exp_f32_e32 v119, v119                                   // 000000008600: 7EEE4177
	v_exp_f32_e32 v120, v120                                   // 000000008604: 7EF04178
	v_exp_f32_e32 v121, v121                                   // 000000008608: 7EF24179
	v_exp_f32_e32 v122, v122                                   // 00000000860C: 7EF4417A
	v_exp_f32_e32 v123, v123                                   // 000000008610: 7EF6417B
	v_exp_f32_e32 v124, v124                                   // 000000008614: 7EF8417C
	v_exp_f32_e32 v125, v125                                   // 000000008618: 7EFA417D
	v_exp_f32_e32 v126, v126                                   // 00000000861C: 7EFC417E
	v_exp_f32_e32 v127, v127                                   // 000000008620: 7EFE417F
	buffer_load_dwordx4 a[104:107], v36, s[20:23], 0 offen     // 000000008624: E05C1000 80856824
	v_mul_f32_dpp v240, v252, v112 quad_perm:[0,0,0,0] row_mask:0xf bank_mask:0xf// 00000000862C: 0BE0E0FA FF0000FC
	v_mul_f32_dpp v241, v252, v113 quad_perm:[1,1,1,1] row_mask:0xf bank_mask:0xf// 000000008634: 0BE2E2FA FF0055FC
	v_mul_f32_dpp v242, v252, v114 quad_perm:[2,2,2,2] row_mask:0xf bank_mask:0xf// 00000000863C: 0BE4E4FA FF00AAFC
	v_mul_f32_dpp v243, v252, v115 quad_perm:[3,3,3,3] row_mask:0xf bank_mask:0xf// 000000008644: 0BE6E6FA FF00FFFC
	v_mul_f32_dpp v244, v253, v116 quad_perm:[0,0,0,0] row_mask:0xf bank_mask:0xf// 00000000864C: 0BE8E8FA FF0000FD
	v_mul_f32_dpp v245, v253, v117 quad_perm:[1,1,1,1] row_mask:0xf bank_mask:0xf// 000000008654: 0BEAEAFA FF0055FD
	v_mul_f32_dpp v246, v253, v118 quad_perm:[2,2,2,2] row_mask:0xf bank_mask:0xf// 00000000865C: 0BECECFA FF00AAFD
	v_mul_f32_dpp v247, v253, v119 quad_perm:[3,3,3,3] row_mask:0xf bank_mask:0xf// 000000008664: 0BEEEEFA FF00FFFD
	v_mul_f32_dpp v248, v254, v120 quad_perm:[0,0,0,0] row_mask:0xf bank_mask:0xf// 00000000866C: 0BF0F0FA FF0000FE
	v_mul_f32_dpp v249, v254, v121 quad_perm:[1,1,1,1] row_mask:0xf bank_mask:0xf// 000000008674: 0BF2F2FA FF0055FE
	v_mul_f32_dpp v250, v254, v122 quad_perm:[2,2,2,2] row_mask:0xf bank_mask:0xf// 00000000867C: 0BF4F4FA FF00AAFE
	v_mul_f32_dpp v251, v254, v123 quad_perm:[3,3,3,3] row_mask:0xf bank_mask:0xf// 000000008684: 0BF6F6FA FF00FFFE
	v_mul_f32_dpp v252, v255, v124 quad_perm:[0,0,0,0] row_mask:0xf bank_mask:0xf// 00000000868C: 0BF8F8FA FF0000FF
	v_mul_f32_dpp v253, v255, v125 quad_perm:[1,1,1,1] row_mask:0xf bank_mask:0xf// 000000008694: 0BFAFAFA FF0055FF
	v_mul_f32_dpp v254, v255, v126 quad_perm:[2,2,2,2] row_mask:0xf bank_mask:0xf// 00000000869C: 0BFCFCFA FF00AAFF
	v_mul_f32_dpp v255, v255, v127 quad_perm:[3,3,3,3] row_mask:0xf bank_mask:0xf// 0000000086A4: 0BFEFEFA FF00FFFF
	v_mov_b32_e32 v48, 0x358637bd                              // 0000000086AC: 7E6002FF 358637BD
	v_max3_f32 v48, |v240|, |v241|, v48                        // 0000000086B4: D1D30330 04C3E3F0
	v_max3_f32 v48, |v242|, |v243|, v48                        // 0000000086BC: D1D30330 04C3E7F2
	v_max3_f32 v48, |v244|, |v245|, v48                        // 0000000086C4: D1D30330 04C3EBF4
	v_max3_f32 v48, |v246|, |v247|, v48                        // 0000000086CC: D1D30330 04C3EFF6
	v_max3_f32 v48, |v248|, |v249|, v48                        // 0000000086D4: D1D30330 04C3F3F8
	v_max3_f32 v48, |v250|, |v251|, v48                        // 0000000086DC: D1D30330 04C3F7FA
	v_max3_f32 v48, |v252|, |v253|, v48                        // 0000000086E4: D1D30330 04C3FBFC
	v_max3_f32 v48, |v254|, |v255|, v48                        // 0000000086EC: D1D30330 04C3FFFE
	buffer_load_dwordx4 a[108:111], v37, s[20:23], 0 offen     // 0000000086F4: E05C1000 80856C25
	ds_write_b32 v8, v48 offset:20992                          // 0000000086FC: D81A5200 00003008
	v_sub_f32_e32 v49, v11, v15                                // 000000008704: 04621F0B
	v_cndmask_b32_e64 v49, v49, 0, s[40:41]                    // 000000008708: D1000031 00A10131
	v_mov_b32_e32 v11, v15                                     // 000000008710: 7E16030F
	v_mul_f32_e32 v49, s64, v49                                // 000000008714: 0A626240
	v_exp_f32_e32 v49, v49                                     // 000000008718: 7E624131
	s_waitcnt lgkmcnt(0)                                       // 00000000871C: BF8CC07F
	s_barrier                                                  // 000000008720: BF8A0000
	ds_read_b32 v64, v7 offset:20992                           // 000000008724: D86C5200 40000007
	ds_read_b32 v65, v7 offset:21056                           // 00000000872C: D86C5240 41000007
	ds_read_b32 v66, v7 offset:21120                           // 000000008734: D86C5280 42000007
	ds_read_b32 v67, v7 offset:21184                           // 00000000873C: D86C52C0 43000007
	ds_read_b32 v68, v7 offset:21248                           // 000000008744: D86C5300 44000007
	ds_read_b32 v69, v7 offset:21312                           // 00000000874C: D86C5340 45000007
	ds_read_b32 v70, v7 offset:21376                           // 000000008754: D86C5380 46000007
	ds_read_b32 v71, v7 offset:21440                           // 00000000875C: D86C53C0 47000007
	ds_read_b32 v72, v7 offset:21504                           // 000000008764: D86C5400 48000007
	ds_read_b32 v73, v7 offset:21568                           // 00000000876C: D86C5440 49000007
	ds_read_b32 v74, v7 offset:21632                           // 000000008774: D86C5480 4A000007
	ds_read_b32 v75, v7 offset:21696                           // 00000000877C: D86C54C0 4B000007
	ds_read_b32 v76, v7 offset:21760                           // 000000008784: D86C5500 4C000007
	ds_read_b32 v77, v7 offset:21824                           // 00000000878C: D86C5540 4D000007
	ds_read_b32 v78, v7 offset:21888                           // 000000008794: D86C5580 4E000007
	ds_read_b32 v79, v7 offset:21952                           // 00000000879C: D86C55C0 4F000007
	v_mul_f32_e32 v38, v49, v38                                // 0000000087A4: 0A4C4D31
	v_mov_b32_e32 v15, v112                                    // 0000000087A8: 7E1E0370
	v_add_f32_e32 v15, v113, v15                               // 0000000087AC: 021E1F71
	v_add_f32_e32 v15, v114, v15                               // 0000000087B0: 021E1F72
	v_add_f32_e32 v15, v115, v15                               // 0000000087B4: 021E1F73
	v_add_f32_e32 v15, v116, v15                               // 0000000087B8: 021E1F74
	v_add_f32_e32 v15, v117, v15                               // 0000000087BC: 021E1F75
	v_add_f32_e32 v15, v118, v15                               // 0000000087C0: 021E1F76
	v_add_f32_e32 v15, v119, v15                               // 0000000087C4: 021E1F77
	v_add_f32_e32 v15, v120, v15                               // 0000000087C8: 021E1F78
	v_add_f32_e32 v15, v121, v15                               // 0000000087CC: 021E1F79
	v_add_f32_e32 v15, v122, v15                               // 0000000087D0: 021E1F7A
	v_add_f32_e32 v15, v123, v15                               // 0000000087D4: 021E1F7B
	v_add_f32_e32 v15, v124, v15                               // 0000000087D8: 021E1F7C
	v_add_f32_e32 v15, v125, v15                               // 0000000087DC: 021E1F7D
	v_add_f32_e32 v15, v126, v15                               // 0000000087E0: 021E1F7E
	v_add_f32_e32 v15, v127, v15                               // 0000000087E4: 021E1F7F
	v_add_f32_e32 v38, v15, v38                                // 0000000087E8: 024C4D0F
	s_waitcnt lgkmcnt(0)                                       // 0000000087EC: BF8CC07F
	v_max3_f32 v48, |v64|, |v65|, v48                          // 0000000087F0: D1D30330 04C28340
	v_max3_f32 v48, |v66|, |v67|, v48                          // 0000000087F8: D1D30330 04C28742
	v_max3_f32 v48, |v68|, |v69|, v48                          // 000000008800: D1D30330 04C28B44
	v_max3_f32 v48, |v70|, |v71|, v48                          // 000000008808: D1D30330 04C28F46
	v_max3_f32 v48, |v72|, |v73|, v48                          // 000000008810: D1D30330 04C29348
	v_max3_f32 v48, |v74|, |v75|, v48                          // 000000008818: D1D30330 04C2974A
	v_max3_f32 v48, |v76|, |v77|, v48                          // 000000008820: D1D30330 04C29B4C
	v_max3_f32 v48, |v78|, |v79|, v48                          // 000000008828: D1D30330 04C29F4E
	s_nop 2                                                    // 000000008830: BF800002
	v_rcp_f32_e32 v48, v48                                     // 000000008834: 7E604530
	s_nop 1                                                    // 000000008838: BF800001
	v_mul_f32_e32 v48, 0x42fe0000, v48                         // 00000000883C: 0A6060FF 42FE0000
	v_mul_f32_e32 v112, v48, v240                              // 000000008844: 0AE1E130
	v_mul_f32_e32 v113, v48, v241                              // 000000008848: 0AE3E330
	v_mul_f32_e32 v114, v48, v242                              // 00000000884C: 0AE5E530
	v_mul_f32_e32 v115, v48, v243                              // 000000008850: 0AE7E730
	v_mul_f32_e32 v116, v48, v244                              // 000000008854: 0AE9E930
	v_mul_f32_e32 v117, v48, v245                              // 000000008858: 0AEBEB30
	v_mul_f32_e32 v118, v48, v246                              // 00000000885C: 0AEDED30
	v_mul_f32_e32 v119, v48, v247                              // 000000008860: 0AEFEF30
	v_mul_f32_e32 v120, v48, v248                              // 000000008864: 0AF1F130
	v_mul_f32_e32 v121, v48, v249                              // 000000008868: 0AF3F330
	v_mul_f32_e32 v122, v48, v250                              // 00000000886C: 0AF5F530
	v_mul_f32_e32 v123, v48, v251                              // 000000008870: 0AF7F730
	v_mul_f32_e32 v124, v48, v252                              // 000000008874: 0AF9F930
	v_mul_f32_e32 v125, v48, v253                              // 000000008878: 0AFBFB30
	v_mul_f32_e32 v126, v48, v254                              // 00000000887C: 0AFDFD30
	v_mul_f32_e32 v127, v48, v255                              // 000000008880: 0AFFFF30
	v_cvt_i32_f32_e32 v112, v112                               // 000000008884: 7EE01170
	v_cvt_i32_f32_e32 v113, v113                               // 000000008888: 7EE21171
	v_cvt_i32_f32_e32 v114, v114                               // 00000000888C: 7EE41172
	v_cvt_i32_f32_e32 v115, v115                               // 000000008890: 7EE61173
	v_cvt_i32_f32_e32 v116, v116                               // 000000008894: 7EE81174
	v_cvt_i32_f32_e32 v117, v117                               // 000000008898: 7EEA1175
	v_cvt_i32_f32_e32 v118, v118                               // 00000000889C: 7EEC1176
	v_cvt_i32_f32_e32 v119, v119                               // 0000000088A0: 7EEE1177
	v_cvt_i32_f32_e32 v120, v120                               // 0000000088A4: 7EF01178
	v_cvt_i32_f32_e32 v121, v121                               // 0000000088A8: 7EF21179
	v_cvt_i32_f32_e32 v122, v122                               // 0000000088AC: 7EF4117A
	v_cvt_i32_f32_e32 v123, v123                               // 0000000088B0: 7EF6117B
	v_cvt_i32_f32_e32 v124, v124                               // 0000000088B4: 7EF8117C
	v_cvt_i32_f32_e32 v125, v125                               // 0000000088B8: 7EFA117D
	v_cvt_i32_f32_e32 v126, v126                               // 0000000088BC: 7EFC117E
	v_cvt_i32_f32_e32 v127, v127                               // 0000000088C0: 7EFE117F
	v_perm_b32 v112, v113, v112, s53                           // 0000000088C4: D1ED0070 00D6E171
	v_perm_b32 v112, v114, v112, s54                           // 0000000088CC: D1ED0070 00DAE172
	v_perm_b32 v112, v115, v112, s55                           // 0000000088D4: D1ED0070 00DEE173
	v_perm_b32 v113, v117, v116, s53                           // 0000000088DC: D1ED0071 00D6E975
	v_perm_b32 v113, v118, v113, s54                           // 0000000088E4: D1ED0071 00DAE376
	v_perm_b32 v113, v119, v113, s55                           // 0000000088EC: D1ED0071 00DEE377
	v_perm_b32 v114, v121, v120, s53                           // 0000000088F4: D1ED0072 00D6F179
	v_perm_b32 v114, v122, v114, s54                           // 0000000088FC: D1ED0072 00DAE57A
	v_perm_b32 v114, v123, v114, s55                           // 000000008904: D1ED0072 00DEE57B
	v_perm_b32 v115, v125, v124, s53                           // 00000000890C: D1ED0073 00D6F97D
	v_perm_b32 v115, v126, v115, s54                           // 000000008914: D1ED0073 00DAE77E
	v_perm_b32 v115, v127, v115, s55                           // 00000000891C: D1ED0073 00DEE77F
	ds_write_b32 v10, v112 offset:25088                        // 000000008924: D81A6200 0000700A
	ds_write_b32 v10, v113 offset:26112                        // 00000000892C: D81A6600 0000710A
	ds_write_b32 v10, v114 offset:27136                        // 000000008934: D81A6A00 0000720A
	ds_write_b32 v10, v115 offset:28160                        // 00000000893C: D81A6E00 0000730A
	v_add_f32_e32 v208, v208, v176                             // 000000008944: 03A161D0
	v_add_f32_e32 v209, v209, v177                             // 000000008948: 03A363D1
	v_add_f32_e32 v210, v210, v178                             // 00000000894C: 03A565D2
	v_add_f32_e32 v211, v211, v179                             // 000000008950: 03A767D3
	v_add_f32_e32 v212, v212, v180                             // 000000008954: 03A969D4
	v_add_f32_e32 v213, v213, v181                             // 000000008958: 03AB6BD5
	v_add_f32_e32 v214, v214, v182                             // 00000000895C: 03AD6DD6
	v_add_f32_e32 v215, v215, v183                             // 000000008960: 03AF6FD7
	v_rcp_f32_e32 v44, v48                                     // 000000008964: 7E584530
	s_waitcnt lgkmcnt(0)                                       // 000000008968: BF8CC07F
	s_barrier                                                  // 00000000896C: BF8A0000
	ds_read_b64 v[112:113], v9 offset:25088                    // 000000008970: D8EC6200 70000009
	ds_read_b64 v[114:115], v9 offset:25216                    // 000000008978: D8EC6280 72000009
	ds_read_b64 v[116:117], v9 offset:26112                    // 000000008980: D8EC6600 74000009
	ds_read_b64 v[118:119], v9 offset:26240                    // 000000008988: D8EC6680 76000009
	ds_read_b64 v[120:121], v9 offset:27136                    // 000000008990: D8EC6A00 78000009
	ds_read_b64 v[122:123], v9 offset:27264                    // 000000008998: D8EC6A80 7A000009
	ds_read_b64 v[124:125], v9 offset:28160                    // 0000000089A0: D8EC6E00 7C000009
	ds_read_b64 v[126:127], v9 offset:28288                    // 0000000089A8: D8EC6E80 7E000009
	v_mov_b32_dpp v64, v42 row_shr:4 row_mask:0xf bank_mask:0xf// 0000000089B0: 7E8002FA FF01142A
	v_mov_b32_dpp v65, v42 row_shl:4 row_mask:0xf bank_mask:0xf// 0000000089B8: 7E8202FA FF01042A
	v_cndmask_b32_e64 v248, v42, v64, s[44:45]                 // 0000000089C0: D10000F8 00B2812A
	v_cndmask_b32_e64 v249, v65, v42, s[44:45]                 // 0000000089C8: D10000F9 00B25541
	v_mov_b32_dpp v64, v248 row_shr:8 row_mask:0xf bank_mask:0xf// 0000000089D0: 7E8002FA FF0118F8
	v_mov_b32_dpp v65, v248 row_shl:8 row_mask:0xf bank_mask:0xf// 0000000089D8: 7E8202FA FF0108F8
	v_mov_b32_dpp v66, v249 row_shr:8 row_mask:0xf bank_mask:0xf// 0000000089E0: 7E8402FA FF0118F9
	v_mov_b32_dpp v67, v249 row_shl:8 row_mask:0xf bank_mask:0xf// 0000000089E8: 7E8602FA FF0108F9
	v_mov_b32_e32 v68, v248                                    // 0000000089F0: 7E8803F8
	v_mov_b32_e32 v69, v249                                    // 0000000089F4: 7E8A03F9
	v_cndmask_b32_e64 v248, v68, v64, s[42:43]                 // 0000000089F8: D10000F8 00AA8144
	v_cndmask_b32_e64 v250, v68, v65, s[78:79]                 // 000000008A00: D10000FA 013A8344
	v_cndmask_b32_e64 v249, v69, v66, s[42:43]                 // 000000008A08: D10000F9 00AA8545
	v_cndmask_b32_e64 v251, v69, v67, s[78:79]                 // 000000008A10: D10000FB 013A8745
	v_mov_b32_dpp v64, v57 row_shr:4 row_mask:0xf bank_mask:0xf// 000000008A18: 7E8002FA FF011439
	v_mov_b32_dpp v65, v57 row_shl:4 row_mask:0xf bank_mask:0xf// 000000008A20: 7E8202FA FF010439
	v_cndmask_b32_e64 v252, v57, v64, s[44:45]                 // 000000008A28: D10000FC 00B28139
	v_cndmask_b32_e64 v253, v65, v57, s[44:45]                 // 000000008A30: D10000FD 00B27341
	v_mov_b32_dpp v64, v252 row_shr:8 row_mask:0xf bank_mask:0xf// 000000008A38: 7E8002FA FF0118FC
	v_mov_b32_dpp v65, v252 row_shl:8 row_mask:0xf bank_mask:0xf// 000000008A40: 7E8202FA FF0108FC
	v_mov_b32_dpp v66, v253 row_shr:8 row_mask:0xf bank_mask:0xf// 000000008A48: 7E8402FA FF0118FD
	v_mov_b32_dpp v67, v253 row_shl:8 row_mask:0xf bank_mask:0xf// 000000008A50: 7E8602FA FF0108FD
	v_mov_b32_e32 v68, v252                                    // 000000008A58: 7E8803FC
	v_mov_b32_e32 v69, v253                                    // 000000008A5C: 7E8A03FD
	v_cndmask_b32_e64 v252, v68, v64, s[42:43]                 // 000000008A60: D10000FC 00AA8144
	v_cndmask_b32_e64 v254, v68, v65, s[78:79]                 // 000000008A68: D10000FE 013A8344
	v_cndmask_b32_e64 v253, v69, v66, s[42:43]                 // 000000008A70: D10000FD 00AA8545
	v_cndmask_b32_e64 v255, v69, v67, s[78:79]                 // 000000008A78: D10000FF 013A8745
	v_cvt_f32_i32_e32 v128, v128                               // 000000008A80: 7F000B80
	v_cvt_f32_i32_e32 v129, v129                               // 000000008A84: 7F020B81
	v_cvt_f32_i32_e32 v130, v130                               // 000000008A88: 7F040B82
	v_cvt_f32_i32_e32 v131, v131                               // 000000008A8C: 7F060B83
	v_cvt_f32_i32_e32 v132, v132                               // 000000008A90: 7F080B84
	v_cvt_f32_i32_e32 v133, v133                               // 000000008A94: 7F0A0B85
	v_cvt_f32_i32_e32 v134, v134                               // 000000008A98: 7F0C0B86
	v_cvt_f32_i32_e32 v135, v135                               // 000000008A9C: 7F0E0B87
	v_cvt_f32_i32_e32 v136, v136                               // 000000008AA0: 7F100B88
	v_cvt_f32_i32_e32 v137, v137                               // 000000008AA4: 7F120B89
	v_cvt_f32_i32_e32 v138, v138                               // 000000008AA8: 7F140B8A
	v_cvt_f32_i32_e32 v139, v139                               // 000000008AAC: 7F160B8B
	v_cvt_f32_i32_e32 v140, v140                               // 000000008AB0: 7F180B8C
	v_cvt_f32_i32_e32 v141, v141                               // 000000008AB4: 7F1A0B8D
	v_cvt_f32_i32_e32 v142, v142                               // 000000008AB8: 7F1C0B8E
	v_cvt_f32_i32_e32 v143, v143                               // 000000008ABC: 7F1E0B8F
	v_mul_f32_e32 v128, v19, v128                              // 000000008AC0: 0B010113
	v_mul_f32_e32 v129, v19, v129                              // 000000008AC4: 0B030313
	v_mul_f32_e32 v130, v19, v130                              // 000000008AC8: 0B050513
	v_mul_f32_e32 v131, v19, v131                              // 000000008ACC: 0B070713
	v_mul_f32_e32 v132, v19, v132                              // 000000008AD0: 0B090913
	v_mul_f32_e32 v133, v19, v133                              // 000000008AD4: 0B0B0B13
	v_mul_f32_e32 v134, v19, v134                              // 000000008AD8: 0B0D0D13
	v_mul_f32_e32 v135, v19, v135                              // 000000008ADC: 0B0F0F13
	v_mul_f32_e32 v136, v19, v136                              // 000000008AE0: 0B111113
	v_mul_f32_e32 v137, v19, v137                              // 000000008AE4: 0B131313
	v_mul_f32_e32 v138, v19, v138                              // 000000008AE8: 0B151513
	v_mul_f32_e32 v139, v19, v139                              // 000000008AEC: 0B171713
	v_mul_f32_e32 v140, v19, v140                              // 000000008AF0: 0B191913
	v_mul_f32_e32 v141, v19, v141                              // 000000008AF4: 0B1B1B13
	v_mul_f32_e32 v142, v19, v142                              // 000000008AF8: 0B1D1D13
	v_mul_f32_e32 v143, v19, v143                              // 000000008AFC: 0B1F1F13
	v_mul_f32_dpp v128, v248, v128 quad_perm:[0,0,0,0] row_mask:0xf bank_mask:0xf// 000000008B00: 0B0100FA FF0000F8
	v_mul_f32_dpp v129, v248, v129 quad_perm:[1,1,1,1] row_mask:0xf bank_mask:0xf// 000000008B08: 0B0302FA FF0055F8
	v_mul_f32_dpp v130, v248, v130 quad_perm:[2,2,2,2] row_mask:0xf bank_mask:0xf// 000000008B10: 0B0504FA FF00AAF8
	v_mul_f32_dpp v131, v248, v131 quad_perm:[3,3,3,3] row_mask:0xf bank_mask:0xf// 000000008B18: 0B0706FA FF00FFF8
	v_mul_f32_dpp v132, v249, v132 quad_perm:[0,0,0,0] row_mask:0xf bank_mask:0xf// 000000008B20: 0B0908FA FF0000F9
	v_mul_f32_dpp v133, v249, v133 quad_perm:[1,1,1,1] row_mask:0xf bank_mask:0xf// 000000008B28: 0B0B0AFA FF0055F9
	v_mul_f32_dpp v134, v249, v134 quad_perm:[2,2,2,2] row_mask:0xf bank_mask:0xf// 000000008B30: 0B0D0CFA FF00AAF9
	v_mul_f32_dpp v135, v249, v135 quad_perm:[3,3,3,3] row_mask:0xf bank_mask:0xf// 000000008B38: 0B0F0EFA FF00FFF9
	v_mul_f32_dpp v136, v250, v136 quad_perm:[0,0,0,0] row_mask:0xf bank_mask:0xf// 000000008B40: 0B1110FA FF0000FA
	v_mul_f32_dpp v137, v250, v137 quad_perm:[1,1,1,1] row_mask:0xf bank_mask:0xf// 000000008B48: 0B1312FA FF0055FA
	v_mul_f32_dpp v138, v250, v138 quad_perm:[2,2,2,2] row_mask:0xf bank_mask:0xf// 000000008B50: 0B1514FA FF00AAFA
	v_mul_f32_dpp v139, v250, v139 quad_perm:[3,3,3,3] row_mask:0xf bank_mask:0xf// 000000008B58: 0B1716FA FF00FFFA
	v_mul_f32_dpp v140, v251, v140 quad_perm:[0,0,0,0] row_mask:0xf bank_mask:0xf// 000000008B60: 0B1918FA FF0000FB
	v_mul_f32_dpp v141, v251, v141 quad_perm:[1,1,1,1] row_mask:0xf bank_mask:0xf// 000000008B68: 0B1B1AFA FF0055FB
	v_mul_f32_dpp v142, v251, v142 quad_perm:[2,2,2,2] row_mask:0xf bank_mask:0xf// 000000008B70: 0B1D1CFA FF00AAFB
	v_mul_f32_dpp v143, v251, v143 quad_perm:[3,3,3,3] row_mask:0xf bank_mask:0xf// 000000008B78: 0B1F1EFA FF00FFFB
	s_cmp_le_i32 s90, s89                                      // 000000008B80: BF05595A
	s_cbranch_scc1 label_1AD3                                  // 000000008B84: BF850071
	v_mov_b32_e32 v66, 0xff800000                              // 000000008B88: 7E8402FF FF800000
	s_mov_b32 s60, s90                                         // 000000008B90: BEBC005A
	s_add_u32 s61, s89, 0xff                                   // 000000008B94: 803DFF59 000000FF
	v_mov_b32_e32 v64, s61                                     // 000000008B9C: 7E80023D
	v_lshrrev_b32_e32 v240, 4, v0                              // 000000008BA0: 21E00084
	v_mul_i32_i24_e32 v240, 4, v240                            // 000000008BA4: 0DE1E084
	v_add_u32_e32 v240, s60, v240                              // 000000008BA8: 69E1E03C
	s_mov_b32 s61, 1                                           // 000000008BAC: BEBD0081
	s_mul_i32 s60, 16, s7                                      // 000000008BB0: 923C0790
	v_sub_u32_e64 v240, v240, s61                              // 000000008BB4: D13500F0 00007BF0
	v_add_u32_e32 v240, s60, v240                              // 000000008BBC: 69E1E03C
	v_add_u32_e32 v241, 1, v240                                // 000000008BC0: 69E3E081
	v_add_u32_e32 v242, 2, v240                                // 000000008BC4: 69E5E082
	v_add_u32_e32 v243, 3, v240                                // 000000008BC8: 69E7E083
	v_cmp_le_u32_e64 s[40:41], v240, v64                       // 000000008BCC: D0CB0028 000281F0
	v_add_u32_e32 v240, 64, v240                               // 000000008BD4: 69E1E0C0
	s_nop 0                                                    // 000000008BD8: BF800000
	v_cndmask_b32_e64 v128, v66, v128, s[40:41]                // 000000008BDC: D1000080 00A30142
	v_cmp_le_u32_e64 s[40:41], v241, v64                       // 000000008BE4: D0CB0028 000281F1
	v_add_u32_e32 v241, 64, v241                               // 000000008BEC: 69E3E2C0
	s_nop 0                                                    // 000000008BF0: BF800000
	v_cndmask_b32_e64 v129, v66, v129, s[40:41]                // 000000008BF4: D1000081 00A30342
	v_cmp_le_u32_e64 s[40:41], v242, v64                       // 000000008BFC: D0CB0028 000281F2
	v_add_u32_e32 v242, 64, v242                               // 000000008C04: 69E5E4C0
	s_nop 0                                                    // 000000008C08: BF800000
	v_cndmask_b32_e64 v130, v66, v130, s[40:41]                // 000000008C0C: D1000082 00A30542
	v_cmp_le_u32_e64 s[40:41], v243, v64                       // 000000008C14: D0CB0028 000281F3
	v_add_u32_e32 v243, 64, v243                               // 000000008C1C: 69E7E6C0
	s_nop 0                                                    // 000000008C20: BF800000
	v_cndmask_b32_e64 v131, v66, v131, s[40:41]                // 000000008C24: D1000083 00A30742
	v_cmp_le_u32_e64 s[40:41], v240, v64                       // 000000008C2C: D0CB0028 000281F0
	v_add_u32_e32 v240, 64, v240                               // 000000008C34: 69E1E0C0
	s_nop 0                                                    // 000000008C38: BF800000
	v_cndmask_b32_e64 v132, v66, v132, s[40:41]                // 000000008C3C: D1000084 00A30942
	v_cmp_le_u32_e64 s[40:41], v241, v64                       // 000000008C44: D0CB0028 000281F1
	v_add_u32_e32 v241, 64, v241                               // 000000008C4C: 69E3E2C0
	s_nop 0                                                    // 000000008C50: BF800000
	v_cndmask_b32_e64 v133, v66, v133, s[40:41]                // 000000008C54: D1000085 00A30B42
	v_cmp_le_u32_e64 s[40:41], v242, v64                       // 000000008C5C: D0CB0028 000281F2
	v_add_u32_e32 v242, 64, v242                               // 000000008C64: 69E5E4C0
	s_nop 0                                                    // 000000008C68: BF800000
	v_cndmask_b32_e64 v134, v66, v134, s[40:41]                // 000000008C6C: D1000086 00A30D42
	v_cmp_le_u32_e64 s[40:41], v243, v64                       // 000000008C74: D0CB0028 000281F3
	v_add_u32_e32 v243, 64, v243                               // 000000008C7C: 69E7E6C0
	s_nop 0                                                    // 000000008C80: BF800000
	v_cndmask_b32_e64 v135, v66, v135, s[40:41]                // 000000008C84: D1000087 00A30F42
	v_cmp_le_u32_e64 s[40:41], v240, v64                       // 000000008C8C: D0CB0028 000281F0
	v_add_u32_e32 v240, 64, v240                               // 000000008C94: 69E1E0C0
	s_nop 0                                                    // 000000008C98: BF800000
	v_cndmask_b32_e64 v136, v66, v136, s[40:41]                // 000000008C9C: D1000088 00A31142
	v_cmp_le_u32_e64 s[40:41], v241, v64                       // 000000008CA4: D0CB0028 000281F1
	v_add_u32_e32 v241, 64, v241                               // 000000008CAC: 69E3E2C0
	s_nop 0                                                    // 000000008CB0: BF800000
	v_cndmask_b32_e64 v137, v66, v137, s[40:41]                // 000000008CB4: D1000089 00A31342
	v_cmp_le_u32_e64 s[40:41], v242, v64                       // 000000008CBC: D0CB0028 000281F2
	v_add_u32_e32 v242, 64, v242                               // 000000008CC4: 69E5E4C0
	s_nop 0                                                    // 000000008CC8: BF800000
	v_cndmask_b32_e64 v138, v66, v138, s[40:41]                // 000000008CCC: D100008A 00A31542
	v_cmp_le_u32_e64 s[40:41], v243, v64                       // 000000008CD4: D0CB0028 000281F3
	v_add_u32_e32 v243, 64, v243                               // 000000008CDC: 69E7E6C0
	s_nop 0                                                    // 000000008CE0: BF800000
	v_cndmask_b32_e64 v139, v66, v139, s[40:41]                // 000000008CE4: D100008B 00A31742
	v_cmp_le_u32_e64 s[40:41], v240, v64                       // 000000008CEC: D0CB0028 000281F0
	v_add_u32_e32 v240, 64, v240                               // 000000008CF4: 69E1E0C0
	s_nop 0                                                    // 000000008CF8: BF800000
	v_cndmask_b32_e64 v140, v66, v140, s[40:41]                // 000000008CFC: D100008C 00A31942
	v_cmp_le_u32_e64 s[40:41], v241, v64                       // 000000008D04: D0CB0028 000281F1
	v_add_u32_e32 v241, 64, v241                               // 000000008D0C: 69E3E2C0
	s_nop 0                                                    // 000000008D10: BF800000
	v_cndmask_b32_e64 v141, v66, v141, s[40:41]                // 000000008D14: D100008D 00A31B42
	v_cmp_le_u32_e64 s[40:41], v242, v64                       // 000000008D1C: D0CB0028 000281F2
	v_add_u32_e32 v242, 64, v242                               // 000000008D24: 69E5E4C0
	s_nop 0                                                    // 000000008D28: BF800000
	v_cndmask_b32_e64 v142, v66, v142, s[40:41]                // 000000008D2C: D100008E 00A31D42
	v_cmp_le_u32_e64 s[40:41], v243, v64                       // 000000008D34: D0CB0028 000281F3
	v_add_u32_e32 v243, 64, v243                               // 000000008D3C: 69E7E6C0
	s_nop 0                                                    // 000000008D40: BF800000
	v_cndmask_b32_e64 v143, v66, v143, s[40:41]                // 000000008D44: D100008F 00A31F42

0000000000008d4c <label_1AD3>:
	s_add_u32 s90, s91, s90                                    // 000000008D4C: 805A5A5B
	v_mov_b32_e32 v48, v128                                    // 000000008D50: 7E600380
	v_max3_f32 v48, v128, v129, v48                            // 000000008D54: D1D30030 04C30380
	v_max3_f32 v48, v130, v131, v48                            // 000000008D5C: D1D30030 04C30782
	v_max3_f32 v48, v132, v133, v48                            // 000000008D64: D1D30030 04C30B84
	v_max3_f32 v48, v134, v135, v48                            // 000000008D6C: D1D30030 04C30F86
	v_max3_f32 v48, v136, v137, v48                            // 000000008D74: D1D30030 04C31388
	v_max3_f32 v48, v138, v139, v48                            // 000000008D7C: D1D30030 04C3178A
	v_max3_f32 v48, v140, v141, v48                            // 000000008D84: D1D30030 04C31B8C
	v_max3_f32 v48, v142, v143, v48                            // 000000008D8C: D1D30030 04C31F8E
	ds_write_b32 v8, v48 offset:16896                          // 000000008D94: D81A4200 00003008
	v_mul_f32_e32 v216, v50, v216                              // 000000008D9C: 0BB1B132
	v_mul_f32_e32 v217, v50, v217                              // 000000008DA0: 0BB3B332
	v_mul_f32_e32 v218, v50, v218                              // 000000008DA4: 0BB5B532
	v_mul_f32_e32 v219, v50, v219                              // 000000008DA8: 0BB7B732
	v_mul_f32_e32 v220, v50, v220                              // 000000008DAC: 0BB9B932
	v_mul_f32_e32 v221, v50, v221                              // 000000008DB0: 0BBBBB32
	v_mul_f32_e32 v222, v50, v222                              // 000000008DB4: 0BBDBD32
	v_mul_f32_e32 v223, v50, v223                              // 000000008DB8: 0BBFBF32
	s_waitcnt lgkmcnt(0)                                       // 000000008DBC: BF8CC07F
	s_barrier                                                  // 000000008DC0: BF8A0000
	ds_read_b32 v64, v7 offset:16896                           // 000000008DC4: D86C4200 40000007
	ds_read_b32 v65, v7 offset:16960                           // 000000008DCC: D86C4240 41000007
	ds_read_b32 v66, v7 offset:17024                           // 000000008DD4: D86C4280 42000007
	ds_read_b32 v67, v7 offset:17088                           // 000000008DDC: D86C42C0 43000007
	ds_read_b32 v68, v7 offset:17152                           // 000000008DE4: D86C4300 44000007
	ds_read_b32 v69, v7 offset:17216                           // 000000008DEC: D86C4340 45000007
	ds_read_b32 v70, v7 offset:17280                           // 000000008DF4: D86C4380 46000007
	ds_read_b32 v71, v7 offset:17344                           // 000000008DFC: D86C43C0 47000007
	ds_read_b32 v72, v7 offset:17408                           // 000000008E04: D86C4400 48000007
	ds_read_b32 v73, v7 offset:17472                           // 000000008E0C: D86C4440 49000007
	ds_read_b32 v74, v7 offset:17536                           // 000000008E14: D86C4480 4A000007
	ds_read_b32 v75, v7 offset:17600                           // 000000008E1C: D86C44C0 4B000007
	ds_read_b32 v76, v7 offset:17664                           // 000000008E24: D86C4500 4C000007
	ds_read_b32 v77, v7 offset:17728                           // 000000008E2C: D86C4540 4D000007
	ds_read_b32 v78, v7 offset:17792                           // 000000008E34: D86C4580 4E000007
	ds_read_b32 v79, v7 offset:17856                           // 000000008E3C: D86C45C0 4F000007
	v_cvt_f32_i32_e32 v184, v184                               // 000000008E44: 7F700BB8
	v_cvt_f32_i32_e32 v185, v185                               // 000000008E48: 7F720BB9
	v_cvt_f32_i32_e32 v186, v186                               // 000000008E4C: 7F740BBA
	v_cvt_f32_i32_e32 v187, v187                               // 000000008E50: 7F760BBB
	v_cvt_f32_i32_e32 v188, v188                               // 000000008E54: 7F780BBC
	v_cvt_f32_i32_e32 v189, v189                               // 000000008E58: 7F7A0BBD
	v_cvt_f32_i32_e32 v190, v190                               // 000000008E5C: 7F7C0BBE
	v_cvt_f32_i32_e32 v191, v191                               // 000000008E60: 7F7E0BBF
	v_mul_f32_e32 v184, v45, v184                              // 000000008E64: 0B71712D
	v_mul_f32_e32 v185, v45, v185                              // 000000008E68: 0B73732D
	v_mul_f32_e32 v186, v45, v186                              // 000000008E6C: 0B75752D
	v_mul_f32_e32 v187, v45, v187                              // 000000008E70: 0B77772D
	v_mul_f32_e32 v188, v45, v188                              // 000000008E74: 0B79792D
	v_mul_f32_e32 v189, v45, v189                              // 000000008E78: 0B7B7B2D
	v_mul_f32_e32 v190, v45, v190                              // 000000008E7C: 0B7D7D2D
	v_mul_f32_e32 v191, v45, v191                              // 000000008E80: 0B7F7F2D
	s_waitcnt lgkmcnt(0)                                       // 000000008E84: BF8CC07F
	v_max3_f32 v48, v64, v65, v48                              // 000000008E88: D1D30030 04C28340
	v_max3_f32 v48, v66, v67, v48                              // 000000008E90: D1D30030 04C28742
	v_max3_f32 v48, v68, v69, v48                              // 000000008E98: D1D30030 04C28B44
	v_max3_f32 v48, v70, v71, v48                              // 000000008EA0: D1D30030 04C28F46
	v_max3_f32 v48, v72, v73, v48                              // 000000008EA8: D1D30030 04C29348
	v_max3_f32 v48, v74, v75, v48                              // 000000008EB0: D1D30030 04C2974A
	v_max3_f32 v48, v76, v77, v48                              // 000000008EB8: D1D30030 04C29B4C
	v_max3_f32 v48, v78, v79, v48                              // 000000008EC0: D1D30030 04C29F4E
	v_mov_b32_e32 v64, 0xff800000                              // 000000008EC8: 7E8002FF FF800000
	v_cmp_eq_u32_e64 s[40:41], v64, v12                        // 000000008ED0: D0CA0028 00021940
	s_nop 1                                                    // 000000008ED8: BF800001
	v_max_f32_e32 v15, v48, v12                                // 000000008EDC: 161E1930
	v_mul_f32_e32 v53, s64, v15                                // 000000008EE0: 0A6A1E40
	v_fma_f32 v128, v128, s64, -v53                            // 000000008EE4: D1CB0080 84D48180
	v_fma_f32 v129, v129, s64, -v53                            // 000000008EEC: D1CB0081 84D48181
	v_fma_f32 v130, v130, s64, -v53                            // 000000008EF4: D1CB0082 84D48182
	v_fma_f32 v131, v131, s64, -v53                            // 000000008EFC: D1CB0083 84D48183
	v_fma_f32 v132, v132, s64, -v53                            // 000000008F04: D1CB0084 84D48184
	v_fma_f32 v133, v133, s64, -v53                            // 000000008F0C: D1CB0085 84D48185
	v_fma_f32 v134, v134, s64, -v53                            // 000000008F14: D1CB0086 84D48186
	v_fma_f32 v135, v135, s64, -v53                            // 000000008F1C: D1CB0087 84D48187
	v_fma_f32 v136, v136, s64, -v53                            // 000000008F24: D1CB0088 84D48188
	v_fma_f32 v137, v137, s64, -v53                            // 000000008F2C: D1CB0089 84D48189
	v_fma_f32 v138, v138, s64, -v53                            // 000000008F34: D1CB008A 84D4818A
	v_fma_f32 v139, v139, s64, -v53                            // 000000008F3C: D1CB008B 84D4818B
	v_fma_f32 v140, v140, s64, -v53                            // 000000008F44: D1CB008C 84D4818C
	v_fma_f32 v141, v141, s64, -v53                            // 000000008F4C: D1CB008D 84D4818D
	v_fma_f32 v142, v142, s64, -v53                            // 000000008F54: D1CB008E 84D4818E
	v_fma_f32 v143, v143, s64, -v53                            // 000000008F5C: D1CB008F 84D4818F
	v_exp_f32_e32 v128, v128                                   // 000000008F64: 7F004180
	v_exp_f32_e32 v129, v129                                   // 000000008F68: 7F024181
	v_exp_f32_e32 v130, v130                                   // 000000008F6C: 7F044182
	v_exp_f32_e32 v131, v131                                   // 000000008F70: 7F064183
	v_exp_f32_e32 v132, v132                                   // 000000008F74: 7F084184
	v_exp_f32_e32 v133, v133                                   // 000000008F78: 7F0A4185
	v_exp_f32_e32 v134, v134                                   // 000000008F7C: 7F0C4186
	v_exp_f32_e32 v135, v135                                   // 000000008F80: 7F0E4187
	v_exp_f32_e32 v136, v136                                   // 000000008F84: 7F104188
	v_exp_f32_e32 v137, v137                                   // 000000008F88: 7F124189
	v_exp_f32_e32 v138, v138                                   // 000000008F8C: 7F14418A
	v_exp_f32_e32 v139, v139                                   // 000000008F90: 7F16418B
	v_exp_f32_e32 v140, v140                                   // 000000008F94: 7F18418C
	v_exp_f32_e32 v141, v141                                   // 000000008F98: 7F1A418D
	v_exp_f32_e32 v142, v142                                   // 000000008F9C: 7F1C418E
	v_exp_f32_e32 v143, v143                                   // 000000008FA0: 7F1E418F
	v_mul_f32_dpp v240, v252, v128 quad_perm:[0,0,0,0] row_mask:0xf bank_mask:0xf// 000000008FA4: 0BE100FA FF0000FC
	v_mul_f32_dpp v241, v252, v129 quad_perm:[1,1,1,1] row_mask:0xf bank_mask:0xf// 000000008FAC: 0BE302FA FF0055FC
	v_mul_f32_dpp v242, v252, v130 quad_perm:[2,2,2,2] row_mask:0xf bank_mask:0xf// 000000008FB4: 0BE504FA FF00AAFC
	v_mul_f32_dpp v243, v252, v131 quad_perm:[3,3,3,3] row_mask:0xf bank_mask:0xf// 000000008FBC: 0BE706FA FF00FFFC
	v_mul_f32_dpp v244, v253, v132 quad_perm:[0,0,0,0] row_mask:0xf bank_mask:0xf// 000000008FC4: 0BE908FA FF0000FD
	v_mul_f32_dpp v245, v253, v133 quad_perm:[1,1,1,1] row_mask:0xf bank_mask:0xf// 000000008FCC: 0BEB0AFA FF0055FD
	v_mul_f32_dpp v246, v253, v134 quad_perm:[2,2,2,2] row_mask:0xf bank_mask:0xf// 000000008FD4: 0BED0CFA FF00AAFD
	v_mul_f32_dpp v247, v253, v135 quad_perm:[3,3,3,3] row_mask:0xf bank_mask:0xf// 000000008FDC: 0BEF0EFA FF00FFFD
	v_mul_f32_dpp v248, v254, v136 quad_perm:[0,0,0,0] row_mask:0xf bank_mask:0xf// 000000008FE4: 0BF110FA FF0000FE
	v_mul_f32_dpp v249, v254, v137 quad_perm:[1,1,1,1] row_mask:0xf bank_mask:0xf// 000000008FEC: 0BF312FA FF0055FE
	v_mul_f32_dpp v250, v254, v138 quad_perm:[2,2,2,2] row_mask:0xf bank_mask:0xf// 000000008FF4: 0BF514FA FF00AAFE
	v_mul_f32_dpp v251, v254, v139 quad_perm:[3,3,3,3] row_mask:0xf bank_mask:0xf// 000000008FFC: 0BF716FA FF00FFFE
	v_mul_f32_dpp v252, v255, v140 quad_perm:[0,0,0,0] row_mask:0xf bank_mask:0xf// 000000009004: 0BF918FA FF0000FF
	v_mul_f32_dpp v253, v255, v141 quad_perm:[1,1,1,1] row_mask:0xf bank_mask:0xf// 00000000900C: 0BFB1AFA FF0055FF
	v_mul_f32_dpp v254, v255, v142 quad_perm:[2,2,2,2] row_mask:0xf bank_mask:0xf// 000000009014: 0BFD1CFA FF00AAFF
	v_mul_f32_dpp v255, v255, v143 quad_perm:[3,3,3,3] row_mask:0xf bank_mask:0xf// 00000000901C: 0BFF1EFA FF00FFFF
	v_mov_b32_e32 v48, 0x358637bd                              // 000000009024: 7E6002FF 358637BD
	v_max3_f32 v48, |v240|, |v241|, v48                        // 00000000902C: D1D30330 04C3E3F0
	v_max3_f32 v48, |v242|, |v243|, v48                        // 000000009034: D1D30330 04C3E7F2
	v_max3_f32 v48, |v244|, |v245|, v48                        // 00000000903C: D1D30330 04C3EBF4
	v_max3_f32 v48, |v246|, |v247|, v48                        // 000000009044: D1D30330 04C3EFF6
	v_max3_f32 v48, |v248|, |v249|, v48                        // 00000000904C: D1D30330 04C3F3F8
	v_max3_f32 v48, |v250|, |v251|, v48                        // 000000009054: D1D30330 04C3F7FA
	v_max3_f32 v48, |v252|, |v253|, v48                        // 00000000905C: D1D30330 04C3FBFC
	v_max3_f32 v48, |v254|, |v255|, v48                        // 000000009064: D1D30330 04C3FFFE
	ds_write_b32 v8, v48 offset:20992                          // 00000000906C: D81A5200 00003008
	v_sub_f32_e32 v50, v12, v15                                // 000000009074: 04641F0C
	v_cndmask_b32_e64 v50, v50, 0, s[40:41]                    // 000000009078: D1000032 00A10132
	v_mov_b32_e32 v12, v15                                     // 000000009080: 7E18030F
	v_mul_f32_e32 v50, s64, v50                                // 000000009084: 0A646440
	v_exp_f32_e32 v50, v50                                     // 000000009088: 7E644132
	s_waitcnt lgkmcnt(0)                                       // 00000000908C: BF8CC07F
	s_barrier                                                  // 000000009090: BF8A0000
	ds_read_b32 v64, v7 offset:20992                           // 000000009094: D86C5200 40000007
	ds_read_b32 v65, v7 offset:21056                           // 00000000909C: D86C5240 41000007
	ds_read_b32 v66, v7 offset:21120                           // 0000000090A4: D86C5280 42000007
	ds_read_b32 v67, v7 offset:21184                           // 0000000090AC: D86C52C0 43000007
	ds_read_b32 v68, v7 offset:21248                           // 0000000090B4: D86C5300 44000007
	ds_read_b32 v69, v7 offset:21312                           // 0000000090BC: D86C5340 45000007
	ds_read_b32 v70, v7 offset:21376                           // 0000000090C4: D86C5380 46000007
	ds_read_b32 v71, v7 offset:21440                           // 0000000090CC: D86C53C0 47000007
	ds_read_b32 v72, v7 offset:21504                           // 0000000090D4: D86C5400 48000007
	ds_read_b32 v73, v7 offset:21568                           // 0000000090DC: D86C5440 49000007
	ds_read_b32 v74, v7 offset:21632                           // 0000000090E4: D86C5480 4A000007
	ds_read_b32 v75, v7 offset:21696                           // 0000000090EC: D86C54C0 4B000007
	ds_read_b32 v76, v7 offset:21760                           // 0000000090F4: D86C5500 4C000007
	ds_read_b32 v77, v7 offset:21824                           // 0000000090FC: D86C5540 4D000007
	ds_read_b32 v78, v7 offset:21888                           // 000000009104: D86C5580 4E000007
	ds_read_b32 v79, v7 offset:21952                           // 00000000910C: D86C55C0 4F000007
	v_mul_f32_e32 v39, v50, v39                                // 000000009114: 0A4E4F32
	v_mov_b32_e32 v15, v128                                    // 000000009118: 7E1E0380
	v_add_f32_e32 v15, v129, v15                               // 00000000911C: 021E1F81
	v_add_f32_e32 v15, v130, v15                               // 000000009120: 021E1F82
	v_add_f32_e32 v15, v131, v15                               // 000000009124: 021E1F83
	v_add_f32_e32 v15, v132, v15                               // 000000009128: 021E1F84
	v_add_f32_e32 v15, v133, v15                               // 00000000912C: 021E1F85
	v_add_f32_e32 v15, v134, v15                               // 000000009130: 021E1F86
	v_add_f32_e32 v15, v135, v15                               // 000000009134: 021E1F87
	v_add_f32_e32 v15, v136, v15                               // 000000009138: 021E1F88
	v_add_f32_e32 v15, v137, v15                               // 00000000913C: 021E1F89
	v_add_f32_e32 v15, v138, v15                               // 000000009140: 021E1F8A
	v_add_f32_e32 v15, v139, v15                               // 000000009144: 021E1F8B
	v_add_f32_e32 v15, v140, v15                               // 000000009148: 021E1F8C
	v_add_f32_e32 v15, v141, v15                               // 00000000914C: 021E1F8D
	v_add_f32_e32 v15, v142, v15                               // 000000009150: 021E1F8E
	v_add_f32_e32 v15, v143, v15                               // 000000009154: 021E1F8F
	v_add_f32_e32 v39, v15, v39                                // 000000009158: 024E4F0F
	s_waitcnt lgkmcnt(0)                                       // 00000000915C: BF8CC07F
	v_max3_f32 v48, |v64|, |v65|, v48                          // 000000009160: D1D30330 04C28340
	v_max3_f32 v48, |v66|, |v67|, v48                          // 000000009168: D1D30330 04C28742
	v_max3_f32 v48, |v68|, |v69|, v48                          // 000000009170: D1D30330 04C28B44
	v_max3_f32 v48, |v70|, |v71|, v48                          // 000000009178: D1D30330 04C28F46
	v_max3_f32 v48, |v72|, |v73|, v48                          // 000000009180: D1D30330 04C29348
	v_max3_f32 v48, |v74|, |v75|, v48                          // 000000009188: D1D30330 04C2974A
	v_max3_f32 v48, |v76|, |v77|, v48                          // 000000009190: D1D30330 04C29B4C
	v_max3_f32 v48, |v78|, |v79|, v48                          // 000000009198: D1D30330 04C29F4E
	s_nop 2                                                    // 0000000091A0: BF800002
	v_rcp_f32_e32 v48, v48                                     // 0000000091A4: 7E604530
	s_nop 1                                                    // 0000000091A8: BF800001
	v_mul_f32_e32 v48, 0x42fe0000, v48                         // 0000000091AC: 0A6060FF 42FE0000
	v_mul_f32_e32 v128, v48, v240                              // 0000000091B4: 0B01E130
	v_mul_f32_e32 v129, v48, v241                              // 0000000091B8: 0B03E330
	v_mul_f32_e32 v130, v48, v242                              // 0000000091BC: 0B05E530
	v_mul_f32_e32 v131, v48, v243                              // 0000000091C0: 0B07E730
	v_mul_f32_e32 v132, v48, v244                              // 0000000091C4: 0B09E930
	v_mul_f32_e32 v133, v48, v245                              // 0000000091C8: 0B0BEB30
	v_mul_f32_e32 v134, v48, v246                              // 0000000091CC: 0B0DED30
	v_mul_f32_e32 v135, v48, v247                              // 0000000091D0: 0B0FEF30
	v_mul_f32_e32 v136, v48, v248                              // 0000000091D4: 0B11F130
	v_mul_f32_e32 v137, v48, v249                              // 0000000091D8: 0B13F330
	v_mul_f32_e32 v138, v48, v250                              // 0000000091DC: 0B15F530
	v_mul_f32_e32 v139, v48, v251                              // 0000000091E0: 0B17F730
	v_mul_f32_e32 v140, v48, v252                              // 0000000091E4: 0B19F930
	v_mul_f32_e32 v141, v48, v253                              // 0000000091E8: 0B1BFB30
	v_mul_f32_e32 v142, v48, v254                              // 0000000091EC: 0B1DFD30
	v_mul_f32_e32 v143, v48, v255                              // 0000000091F0: 0B1FFF30
	v_cvt_i32_f32_e32 v128, v128                               // 0000000091F4: 7F001180
	v_cvt_i32_f32_e32 v129, v129                               // 0000000091F8: 7F021181
	v_cvt_i32_f32_e32 v130, v130                               // 0000000091FC: 7F041182
	v_cvt_i32_f32_e32 v131, v131                               // 000000009200: 7F061183
	v_cvt_i32_f32_e32 v132, v132                               // 000000009204: 7F081184
	v_cvt_i32_f32_e32 v133, v133                               // 000000009208: 7F0A1185
	v_cvt_i32_f32_e32 v134, v134                               // 00000000920C: 7F0C1186
	v_cvt_i32_f32_e32 v135, v135                               // 000000009210: 7F0E1187
	v_cvt_i32_f32_e32 v136, v136                               // 000000009214: 7F101188
	v_cvt_i32_f32_e32 v137, v137                               // 000000009218: 7F121189
	v_cvt_i32_f32_e32 v138, v138                               // 00000000921C: 7F14118A
	v_cvt_i32_f32_e32 v139, v139                               // 000000009220: 7F16118B
	v_cvt_i32_f32_e32 v140, v140                               // 000000009224: 7F18118C
	v_cvt_i32_f32_e32 v141, v141                               // 000000009228: 7F1A118D
	v_cvt_i32_f32_e32 v142, v142                               // 00000000922C: 7F1C118E
	v_cvt_i32_f32_e32 v143, v143                               // 000000009230: 7F1E118F
	v_perm_b32 v128, v129, v128, s53                           // 000000009234: D1ED0080 00D70181
	v_perm_b32 v128, v130, v128, s54                           // 00000000923C: D1ED0080 00DB0182
	v_perm_b32 v128, v131, v128, s55                           // 000000009244: D1ED0080 00DF0183
	v_perm_b32 v129, v133, v132, s53                           // 00000000924C: D1ED0081 00D70985
	v_perm_b32 v129, v134, v129, s54                           // 000000009254: D1ED0081 00DB0386
	v_perm_b32 v129, v135, v129, s55                           // 00000000925C: D1ED0081 00DF0387
	v_perm_b32 v130, v137, v136, s53                           // 000000009264: D1ED0082 00D71189
	v_perm_b32 v130, v138, v130, s54                           // 00000000926C: D1ED0082 00DB058A
	v_perm_b32 v130, v139, v130, s55                           // 000000009274: D1ED0082 00DF058B
	v_perm_b32 v131, v141, v140, s53                           // 00000000927C: D1ED0083 00D7198D
	v_perm_b32 v131, v142, v131, s54                           // 000000009284: D1ED0083 00DB078E
	v_perm_b32 v131, v143, v131, s55                           // 00000000928C: D1ED0083 00DF078F
	ds_write_b32 v10, v128 offset:29184                        // 000000009294: D81A7200 0000800A
	ds_write_b32 v10, v129 offset:30208                        // 00000000929C: D81A7600 0000810A
	ds_write_b32 v10, v130 offset:31232                        // 0000000092A4: D81A7A00 0000820A
	ds_write_b32 v10, v131 offset:32256                        // 0000000092AC: D81A7E00 0000830A
	v_add_f32_e32 v216, v216, v184                             // 0000000092B4: 03B171D8
	v_add_f32_e32 v217, v217, v185                             // 0000000092B8: 03B373D9
	v_add_f32_e32 v218, v218, v186                             // 0000000092BC: 03B575DA
	v_add_f32_e32 v219, v219, v187                             // 0000000092C0: 03B777DB
	v_add_f32_e32 v220, v220, v188                             // 0000000092C4: 03B979DC
	v_add_f32_e32 v221, v221, v189                             // 0000000092C8: 03BB7BDD
	v_add_f32_e32 v222, v222, v190                             // 0000000092CC: 03BD7DDE
	v_add_f32_e32 v223, v223, v191                             // 0000000092D0: 03BF7FDF
	v_rcp_f32_e32 v45, v48                                     // 0000000092D4: 7E5A4530
	s_waitcnt lgkmcnt(0)                                       // 0000000092D8: BF8CC07F
	s_barrier                                                  // 0000000092DC: BF8A0000
	ds_read_b64 v[128:129], v9 offset:29184                    // 0000000092E0: D8EC7200 80000009
	ds_read_b64 v[130:131], v9 offset:29312                    // 0000000092E8: D8EC7280 82000009
	ds_read_b64 v[132:133], v9 offset:30208                    // 0000000092F0: D8EC7600 84000009
	ds_read_b64 v[134:135], v9 offset:30336                    // 0000000092F8: D8EC7680 86000009
	ds_read_b64 v[136:137], v9 offset:31232                    // 000000009300: D8EC7A00 88000009
	ds_read_b64 v[138:139], v9 offset:31360                    // 000000009308: D8EC7A80 8A000009
	ds_read_b64 v[140:141], v9 offset:32256                    // 000000009310: D8EC7E00 8C000009
	ds_read_b64 v[142:143], v9 offset:32384                    // 000000009318: D8EC7E80 8E000009
	s_waitcnt vmcnt(15)                                        // 000000009320: BF8C0F7F
	v_mfma_i32_16x16x32_i8 v[176:179], a[64:65], v[112:113], 0 // 000000009324: D3D700B0 0A02E140
	v_mfma_i32_16x16x32_i8 v[176:179], a[66:67], v[114:115], v[176:179]// 00000000932C: D3D700B0 0EC2E542
	buffer_load_dwordx4 a[112:115], v34, s[20:23], 0 offen offset:1024// 000000009334: E05C1400 80857022
	v_mfma_i32_16x16x32_i8 v[176:179], a[68:69], v[116:117], v[176:179]// 00000000933C: D3D700B0 0EC2E944
	v_mfma_i32_16x16x32_i8 v[176:179], a[70:71], v[118:119], v[176:179]// 000000009344: D3D700B0 0EC2ED46
	v_mfma_i32_16x16x32_i8 v[176:179], a[72:73], v[120:121], v[176:179]// 00000000934C: D3D700B0 0EC2F148
	v_mfma_i32_16x16x32_i8 v[176:179], a[74:75], v[122:123], v[176:179]// 000000009354: D3D700B0 0EC2F54A
	buffer_load_dwordx4 a[116:119], v35, s[20:23], 0 offen offset:1024// 00000000935C: E05C1400 80857423
	v_mfma_i32_16x16x32_i8 v[176:179], a[76:77], v[124:125], v[176:179]// 000000009364: D3D700B0 0EC2F94C
	v_mfma_i32_16x16x32_i8 v[176:179], a[78:79], v[126:127], v[176:179]// 00000000936C: D3D700B0 0EC2FD4E
	v_mfma_i32_16x16x32_i8 v[180:183], a[80:81], v[112:113], 0 // 000000009374: D3D700B4 0A02E150
	v_mfma_i32_16x16x32_i8 v[180:183], a[82:83], v[114:115], v[180:183]// 00000000937C: D3D700B4 0ED2E552
	buffer_load_dwordx4 a[120:123], v36, s[20:23], 0 offen offset:1024// 000000009384: E05C1400 80857824
	v_mfma_i32_16x16x32_i8 v[180:183], a[84:85], v[116:117], v[180:183]// 00000000938C: D3D700B4 0ED2E954
	v_mfma_i32_16x16x32_i8 v[180:183], a[86:87], v[118:119], v[180:183]// 000000009394: D3D700B4 0ED2ED56
	v_mfma_i32_16x16x32_i8 v[180:183], a[88:89], v[120:121], v[180:183]// 00000000939C: D3D700B4 0ED2F158
	v_mfma_i32_16x16x32_i8 v[180:183], a[90:91], v[122:123], v[180:183]// 0000000093A4: D3D700B4 0ED2F55A
	buffer_load_dwordx4 a[124:127], v37, s[20:23], 0 offen offset:1024// 0000000093AC: E05C1400 80857C25
	v_mfma_i32_16x16x32_i8 v[180:183], a[92:93], v[124:125], v[180:183]// 0000000093B4: D3D700B4 0ED2F95C
	s_lshr_b32 s57, s70, 4                                     // 0000000093BC: 8F398446
	s_add_u32 s57, 48, s57                                     // 0000000093C0: 803939B0
	v_mfma_i32_16x16x32_i8 v[180:183], a[94:95], v[126:127], v[180:183]// 0000000093C4: D3D700B4 0ED2FD5E
	s_cmp_ge_u32 s57, s73                                      // 0000000093CC: BF094939
	s_cselect_b32 s56, 0, s56                                  // 0000000093D0: 85383880
	v_mfma_i32_16x16x32_i8 v[184:187], a[64:65], v[128:129], 0 // 0000000093D4: D3D700B8 0A030140
	v_mfma_i32_16x16x32_i8 v[184:187], a[66:67], v[130:131], v[184:187]// 0000000093DC: D3D700B8 0EE30542
	v_mfma_i32_16x16x32_i8 v[184:187], a[68:69], v[132:133], v[184:187]// 0000000093E4: D3D700B8 0EE30944
	v_mfma_i32_16x16x32_i8 v[184:187], a[70:71], v[134:135], v[184:187]// 0000000093EC: D3D700B8 0EE30D46
	v_mfma_i32_16x16x32_i8 v[184:187], a[72:73], v[136:137], v[184:187]// 0000000093F4: D3D700B8 0EE31148
	v_mfma_i32_16x16x32_i8 v[184:187], a[74:75], v[138:139], v[184:187]// 0000000093FC: D3D700B8 0EE3154A
	v_mfma_i32_16x16x32_i8 v[184:187], a[76:77], v[140:141], v[184:187]// 000000009404: D3D700B8 0EE3194C
	v_mfma_i32_16x16x32_i8 v[184:187], a[78:79], v[142:143], v[184:187]// 00000000940C: D3D700B8 0EE31D4E
	v_mfma_i32_16x16x32_i8 v[188:191], a[80:81], v[128:129], 0 // 000000009414: D3D700BC 0A030150
	v_mfma_i32_16x16x32_i8 v[188:191], a[82:83], v[130:131], v[188:191]// 00000000941C: D3D700BC 0EF30552
	v_mfma_i32_16x16x32_i8 v[188:191], a[84:85], v[132:133], v[188:191]// 000000009424: D3D700BC 0EF30954
	v_mfma_i32_16x16x32_i8 v[188:191], a[86:87], v[134:135], v[188:191]// 00000000942C: D3D700BC 0EF30D56
	v_mfma_i32_16x16x32_i8 v[188:191], a[88:89], v[136:137], v[188:191]// 000000009434: D3D700BC 0EF31158
	v_mfma_i32_16x16x32_i8 v[188:191], a[90:91], v[138:139], v[188:191]// 00000000943C: D3D700BC 0EF3155A
	v_mfma_i32_16x16x32_i8 v[188:191], a[92:93], v[140:141], v[188:191]// 000000009444: D3D700BC 0EF3195C
	v_mfma_i32_16x16x32_i8 v[188:191], a[94:95], v[142:143], v[188:191]// 00000000944C: D3D700BC 0EF31D5E
	v_add_u32_e32 v1, s56, v1                                  // 000000009454: 68020238
	s_addk_i32 s70, 0x100                                      // 000000009458: B7460100
	s_cmp_lt_i32 s70, s71                                      // 00000000945C: BF044746
	s_cbranch_scc0 label_221F                                  // 000000009460: BF840586
	s_waitcnt vmcnt(8) lgkmcnt(0)                              // 000000009464: BF8C0078
	v_mul_u32_u24_dpp v64, v16, v54 row_newbcast:0 row_mask:0xf bank_mask:0xf// 000000009468: 10806CFA FF015010
	v_mul_u32_u24_dpp v65, v16, v54 row_newbcast:4 row_mask:0xf bank_mask:0xf// 000000009470: 10826CFA FF015410
	v_mul_u32_u24_dpp v66, v16, v54 row_newbcast:8 row_mask:0xf bank_mask:0xf// 000000009478: 10846CFA FF015810
	v_mul_u32_u24_dpp v67, v16, v54 row_newbcast:12 row_mask:0xf bank_mask:0xf// 000000009480: 10866CFA FF015C10
	v_add_u32_e32 v22, v64, v5                                 // 000000009488: 682C0B40
	v_add_u32_e32 v23, v65, v5                                 // 00000000948C: 682E0B41
	v_add_u32_e32 v24, v66, v5                                 // 000000009490: 68300B42
	v_add_u32_e32 v25, v67, v5                                 // 000000009494: 68320B43
	v_mul_u32_u24_dpp v64, v16, v63 quad_perm:[0,0,0,0] row_mask:0xf bank_mask:0xf// 000000009498: 10807EFA FF000010
	v_add_u32_e32 v2, v64, v59                                 // 0000000094A0: 68047740
	v_mul_u32_u24_dpp v64, v16, v63 quad_perm:[0,0,0,0] row_mask:0xf bank_mask:0xf// 0000000094A4: 10807EFA FF000010
	v_add_u32_e32 v55, v64, v60                                // 0000000094AC: 686E7940
	v_mfma_i32_16x16x32_i8 v[112:115], a[32:33], v[80:81], 0   // 0000000094B0: D3D70070 0A02A120
	v_mfma_i32_16x16x32_i8 v[112:115], a[34:35], v[82:83], v[112:115]// 0000000094B8: D3D70070 0DC2A522
	buffer_load_dwordx4 a[0:3], v22, s[16:19], 0 offen         // 0000000094C0: E05C1000 80840016
	v_mfma_i32_16x16x32_i8 v[112:115], a[36:37], v[84:85], v[112:115]// 0000000094C8: D3D70070 0DC2A924
	v_mfma_i32_16x16x32_i8 v[112:115], a[38:39], v[86:87], v[112:115]// 0000000094D0: D3D70070 0DC2AD26
	buffer_load_dword v17, v1, s[24:27], 0 offen               // 0000000094D8: E0501000 80061101
	v_mfma_i32_16x16x32_i8 v[116:119], a[40:41], v[80:81], 0   // 0000000094E0: D3D70074 0A02A128
	v_mfma_i32_16x16x32_i8 v[116:119], a[42:43], v[82:83], v[116:119]// 0000000094E8: D3D70074 0DD2A52A
	buffer_load_dwordx4 a[4:7], v22, s[16:19], 0 offen offset:1024// 0000000094F0: E05C1400 80840416
	v_mfma_i32_16x16x32_i8 v[116:119], a[44:45], v[84:85], v[116:119]// 0000000094F8: D3D70074 0DD2A92C
	v_mfma_i32_16x16x32_i8 v[116:119], a[46:47], v[86:87], v[116:119]// 000000009500: D3D70074 0DD2AD2E
	v_mfma_i32_16x16x32_i8 v[120:123], a[48:49], v[80:81], 0   // 000000009508: D3D70078 0A02A130
	v_mfma_i32_16x16x32_i8 v[120:123], a[50:51], v[82:83], v[120:123]// 000000009510: D3D70078 0DE2A532
	buffer_load_dwordx4 a[8:11], v23, s[16:19], 0 offen        // 000000009518: E05C1000 80840817
	v_mfma_i32_16x16x32_i8 v[120:123], a[52:53], v[84:85], v[120:123]// 000000009520: D3D70078 0DE2A934
	v_mfma_i32_16x16x32_i8 v[120:123], a[54:55], v[86:87], v[120:123]// 000000009528: D3D70078 0DE2AD36
	v_mfma_i32_16x16x32_i8 v[124:127], a[56:57], v[80:81], 0   // 000000009530: D3D7007C 0A02A138
	v_mfma_i32_16x16x32_i8 v[124:127], a[58:59], v[82:83], v[124:127]// 000000009538: D3D7007C 0DF2A53A
	buffer_load_dwordx4 a[12:15], v23, s[16:19], 0 offen offset:1024// 000000009540: E05C1400 80840C17
	v_mfma_i32_16x16x32_i8 v[124:127], a[60:61], v[84:85], v[124:127]// 000000009548: D3D7007C 0DF2A93C
	v_mfma_i32_16x16x32_i8 v[124:127], a[62:63], v[86:87], v[124:127]// 000000009550: D3D7007C 0DF2AD3E
	v_mfma_i32_16x16x32_i8 v[128:131], a[32:33], v[88:89], 0   // 000000009558: D3D70080 0A02B120
	v_mfma_i32_16x16x32_i8 v[128:131], a[34:35], v[90:91], v[128:131]// 000000009560: D3D70080 0E02B522
	v_mfma_i32_16x16x32_i8 v[128:131], a[36:37], v[92:93], v[128:131]// 000000009568: D3D70080 0E02B924
	v_mfma_i32_16x16x32_i8 v[128:131], a[38:39], v[94:95], v[128:131]// 000000009570: D3D70080 0E02BD26
	v_mfma_i32_16x16x32_i8 v[132:135], a[40:41], v[88:89], 0   // 000000009578: D3D70084 0A02B128
	v_mfma_i32_16x16x32_i8 v[132:135], a[42:43], v[90:91], v[132:135]// 000000009580: D3D70084 0E12B52A
	v_mfma_i32_16x16x32_i8 v[132:135], a[44:45], v[92:93], v[132:135]// 000000009588: D3D70084 0E12B92C
	v_mfma_i32_16x16x32_i8 v[132:135], a[46:47], v[94:95], v[132:135]// 000000009590: D3D70084 0E12BD2E
	v_mfma_i32_16x16x32_i8 v[136:139], a[48:49], v[88:89], 0   // 000000009598: D3D70088 0A02B130
	v_mfma_i32_16x16x32_i8 v[136:139], a[50:51], v[90:91], v[136:139]// 0000000095A0: D3D70088 0E22B532
	v_mfma_i32_16x16x32_i8 v[136:139], a[52:53], v[92:93], v[136:139]// 0000000095A8: D3D70088 0E22B934
	v_mfma_i32_16x16x32_i8 v[136:139], a[54:55], v[94:95], v[136:139]// 0000000095B0: D3D70088 0E22BD36
	v_mfma_i32_16x16x32_i8 v[140:143], a[56:57], v[88:89], 0   // 0000000095B8: D3D7008C 0A02B138
	v_mfma_i32_16x16x32_i8 v[140:143], a[58:59], v[90:91], v[140:143]// 0000000095C0: D3D7008C 0E32B53A
	v_mfma_i32_16x16x32_i8 v[140:143], a[60:61], v[92:93], v[140:143]// 0000000095C8: D3D7008C 0E32B93C
	v_mfma_i32_16x16x32_i8 v[140:143], a[62:63], v[94:95], v[140:143]// 0000000095D0: D3D7008C 0E32BD3E
	buffer_load_dword v42, v2, s[32:35], 0 offen               // 0000000095D8: E0501000 80082A02
	v_mov_b32_dpp v64, v43 row_shr:4 row_mask:0xf bank_mask:0xf// 0000000095E0: 7E8002FA FF01142B
	v_mov_b32_dpp v65, v43 row_shl:4 row_mask:0xf bank_mask:0xf// 0000000095E8: 7E8202FA FF01042B
	v_cndmask_b32_e64 v248, v43, v64, s[44:45]                 // 0000000095F0: D10000F8 00B2812B
	v_cndmask_b32_e64 v249, v65, v43, s[44:45]                 // 0000000095F8: D10000F9 00B25741
	v_mov_b32_dpp v64, v248 row_shr:8 row_mask:0xf bank_mask:0xf// 000000009600: 7E8002FA FF0118F8
	v_mov_b32_dpp v65, v248 row_shl:8 row_mask:0xf bank_mask:0xf// 000000009608: 7E8202FA FF0108F8
	v_mov_b32_dpp v66, v249 row_shr:8 row_mask:0xf bank_mask:0xf// 000000009610: 7E8402FA FF0118F9
	v_mov_b32_dpp v67, v249 row_shl:8 row_mask:0xf bank_mask:0xf// 000000009618: 7E8602FA FF0108F9
	v_mov_b32_e32 v68, v248                                    // 000000009620: 7E8803F8
	v_mov_b32_e32 v69, v249                                    // 000000009624: 7E8A03F9
	v_cndmask_b32_e64 v248, v68, v64, s[42:43]                 // 000000009628: D10000F8 00AA8144
	v_cndmask_b32_e64 v250, v68, v65, s[78:79]                 // 000000009630: D10000FA 013A8344
	v_cndmask_b32_e64 v249, v69, v66, s[42:43]                 // 000000009638: D10000F9 00AA8545
	v_cndmask_b32_e64 v251, v69, v67, s[78:79]                 // 000000009640: D10000FB 013A8745
	v_mov_b32_dpp v64, v58 row_shr:4 row_mask:0xf bank_mask:0xf// 000000009648: 7E8002FA FF01143A
	v_mov_b32_dpp v65, v58 row_shl:4 row_mask:0xf bank_mask:0xf// 000000009650: 7E8202FA FF01043A
	v_cndmask_b32_e64 v252, v58, v64, s[44:45]                 // 000000009658: D10000FC 00B2813A
	v_cndmask_b32_e64 v253, v65, v58, s[44:45]                 // 000000009660: D10000FD 00B27541
	v_mov_b32_dpp v64, v252 row_shr:8 row_mask:0xf bank_mask:0xf// 000000009668: 7E8002FA FF0118FC
	v_mov_b32_dpp v65, v252 row_shl:8 row_mask:0xf bank_mask:0xf// 000000009670: 7E8202FA FF0108FC
	v_mov_b32_dpp v66, v253 row_shr:8 row_mask:0xf bank_mask:0xf// 000000009678: 7E8402FA FF0118FD
	v_mov_b32_dpp v67, v253 row_shl:8 row_mask:0xf bank_mask:0xf// 000000009680: 7E8602FA FF0108FD
	v_mov_b32_e32 v68, v252                                    // 000000009688: 7E8803FC
	v_mov_b32_e32 v69, v253                                    // 00000000968C: 7E8A03FD
	v_cndmask_b32_e64 v252, v68, v64, s[42:43]                 // 000000009690: D10000FC 00AA8144
	v_cndmask_b32_e64 v254, v68, v65, s[78:79]                 // 000000009698: D10000FE 013A8344
	v_cndmask_b32_e64 v253, v69, v66, s[42:43]                 // 0000000096A0: D10000FD 00AA8545
	v_cndmask_b32_e64 v255, v69, v67, s[78:79]                 // 0000000096A8: D10000FF 013A8745
	buffer_load_dword v57, v55, s[36:39], 0 offen              // 0000000096B0: E0501000 80093937
	v_cvt_f32_i32_e32 v112, v112                               // 0000000096B8: 7EE00B70
	v_cvt_f32_i32_e32 v113, v113                               // 0000000096BC: 7EE20B71
	v_cvt_f32_i32_e32 v114, v114                               // 0000000096C0: 7EE40B72
	v_cvt_f32_i32_e32 v115, v115                               // 0000000096C4: 7EE60B73
	v_cvt_f32_i32_e32 v116, v116                               // 0000000096C8: 7EE80B74
	v_cvt_f32_i32_e32 v117, v117                               // 0000000096CC: 7EEA0B75
	v_cvt_f32_i32_e32 v118, v118                               // 0000000096D0: 7EEC0B76
	v_cvt_f32_i32_e32 v119, v119                               // 0000000096D4: 7EEE0B77
	v_cvt_f32_i32_e32 v120, v120                               // 0000000096D8: 7EF00B78
	v_cvt_f32_i32_e32 v121, v121                               // 0000000096DC: 7EF20B79
	v_cvt_f32_i32_e32 v122, v122                               // 0000000096E0: 7EF40B7A
	v_cvt_f32_i32_e32 v123, v123                               // 0000000096E4: 7EF60B7B
	v_cvt_f32_i32_e32 v124, v124                               // 0000000096E8: 7EF80B7C
	v_cvt_f32_i32_e32 v125, v125                               // 0000000096EC: 7EFA0B7D
	v_cvt_f32_i32_e32 v126, v126                               // 0000000096F0: 7EFC0B7E
	v_cvt_f32_i32_e32 v127, v127                               // 0000000096F4: 7EFE0B7F
	v_mul_f32_e32 v112, v18, v112                              // 0000000096F8: 0AE0E112
	v_mul_f32_e32 v113, v18, v113                              // 0000000096FC: 0AE2E312
	v_mul_f32_e32 v114, v18, v114                              // 000000009700: 0AE4E512
	v_mul_f32_e32 v115, v18, v115                              // 000000009704: 0AE6E712
	v_mul_f32_e32 v116, v18, v116                              // 000000009708: 0AE8E912
	v_mul_f32_e32 v117, v18, v117                              // 00000000970C: 0AEAEB12
	v_mul_f32_e32 v118, v18, v118                              // 000000009710: 0AECED12
	v_mul_f32_e32 v119, v18, v119                              // 000000009714: 0AEEEF12
	v_mul_f32_e32 v120, v18, v120                              // 000000009718: 0AF0F112
	v_mul_f32_e32 v121, v18, v121                              // 00000000971C: 0AF2F312
	v_mul_f32_e32 v122, v18, v122                              // 000000009720: 0AF4F512
	v_mul_f32_e32 v123, v18, v123                              // 000000009724: 0AF6F712
	v_mul_f32_e32 v124, v18, v124                              // 000000009728: 0AF8F912
	v_mul_f32_e32 v125, v18, v125                              // 00000000972C: 0AFAFB12
	v_mul_f32_e32 v126, v18, v126                              // 000000009730: 0AFCFD12
	v_mul_f32_e32 v127, v18, v127                              // 000000009734: 0AFEFF12
	buffer_load_dwordx4 a[16:19], v24, s[16:19], 0 offen       // 000000009738: E05C1000 80841018
	v_mul_f32_dpp v112, v248, v112 quad_perm:[0,0,0,0] row_mask:0xf bank_mask:0xf// 000000009740: 0AE0E0FA FF0000F8
	v_mul_f32_dpp v113, v248, v113 quad_perm:[1,1,1,1] row_mask:0xf bank_mask:0xf// 000000009748: 0AE2E2FA FF0055F8
	v_mul_f32_dpp v114, v248, v114 quad_perm:[2,2,2,2] row_mask:0xf bank_mask:0xf// 000000009750: 0AE4E4FA FF00AAF8
	v_mul_f32_dpp v115, v248, v115 quad_perm:[3,3,3,3] row_mask:0xf bank_mask:0xf// 000000009758: 0AE6E6FA FF00FFF8
	v_mul_f32_dpp v116, v249, v116 quad_perm:[0,0,0,0] row_mask:0xf bank_mask:0xf// 000000009760: 0AE8E8FA FF0000F9
	v_mul_f32_dpp v117, v249, v117 quad_perm:[1,1,1,1] row_mask:0xf bank_mask:0xf// 000000009768: 0AEAEAFA FF0055F9
	v_mul_f32_dpp v118, v249, v118 quad_perm:[2,2,2,2] row_mask:0xf bank_mask:0xf// 000000009770: 0AECECFA FF00AAF9
	v_mul_f32_dpp v119, v249, v119 quad_perm:[3,3,3,3] row_mask:0xf bank_mask:0xf// 000000009778: 0AEEEEFA FF00FFF9
	v_mul_f32_dpp v120, v250, v120 quad_perm:[0,0,0,0] row_mask:0xf bank_mask:0xf// 000000009780: 0AF0F0FA FF0000FA
	v_mul_f32_dpp v121, v250, v121 quad_perm:[1,1,1,1] row_mask:0xf bank_mask:0xf// 000000009788: 0AF2F2FA FF0055FA
	v_mul_f32_dpp v122, v250, v122 quad_perm:[2,2,2,2] row_mask:0xf bank_mask:0xf// 000000009790: 0AF4F4FA FF00AAFA
	v_mul_f32_dpp v123, v250, v123 quad_perm:[3,3,3,3] row_mask:0xf bank_mask:0xf// 000000009798: 0AF6F6FA FF00FFFA
	v_mul_f32_dpp v124, v251, v124 quad_perm:[0,0,0,0] row_mask:0xf bank_mask:0xf// 0000000097A0: 0AF8F8FA FF0000FB
	v_mul_f32_dpp v125, v251, v125 quad_perm:[1,1,1,1] row_mask:0xf bank_mask:0xf// 0000000097A8: 0AFAFAFA FF0055FB
	v_mul_f32_dpp v126, v251, v126 quad_perm:[2,2,2,2] row_mask:0xf bank_mask:0xf// 0000000097B0: 0AFCFCFA FF00AAFB
	v_mul_f32_dpp v127, v251, v127 quad_perm:[3,3,3,3] row_mask:0xf bank_mask:0xf// 0000000097B8: 0AFEFEFA FF00FFFB
	buffer_load_dwordx4 a[20:23], v24, s[16:19], 0 offen offset:1024// 0000000097C0: E05C1400 80841418
	s_cmp_le_i32 s90, s89                                      // 0000000097C8: BF05595A
	s_cbranch_scc1 label_1DE5                                  // 0000000097CC: BF850071
	v_mov_b32_e32 v66, 0xff800000                              // 0000000097D0: 7E8402FF FF800000
	s_mov_b32 s60, s90                                         // 0000000097D8: BEBC005A
	s_add_u32 s61, s89, 0xff                                   // 0000000097DC: 803DFF59 000000FF
	v_mov_b32_e32 v64, s61                                     // 0000000097E4: 7E80023D
	v_lshrrev_b32_e32 v240, 4, v0                              // 0000000097E8: 21E00084
	v_mul_i32_i24_e32 v240, 4, v240                            // 0000000097EC: 0DE1E084
	v_add_u32_e32 v240, s60, v240                              // 0000000097F0: 69E1E03C
	s_mov_b32 s61, 0                                           // 0000000097F4: BEBD0080
	s_mul_i32 s60, 16, s7                                      // 0000000097F8: 923C0790
	v_sub_u32_e64 v240, v240, s61                              // 0000000097FC: D13500F0 00007BF0
	v_add_u32_e32 v240, s60, v240                              // 000000009804: 69E1E03C
	v_add_u32_e32 v241, 1, v240                                // 000000009808: 69E3E081
	v_add_u32_e32 v242, 2, v240                                // 00000000980C: 69E5E082
	v_add_u32_e32 v243, 3, v240                                // 000000009810: 69E7E083
	v_cmp_le_u32_e64 s[40:41], v240, v64                       // 000000009814: D0CB0028 000281F0
	v_add_u32_e32 v240, 64, v240                               // 00000000981C: 69E1E0C0
	s_nop 0                                                    // 000000009820: BF800000
	v_cndmask_b32_e64 v112, v66, v112, s[40:41]                // 000000009824: D1000070 00A2E142
	v_cmp_le_u32_e64 s[40:41], v241, v64                       // 00000000982C: D0CB0028 000281F1
	v_add_u32_e32 v241, 64, v241                               // 000000009834: 69E3E2C0
	s_nop 0                                                    // 000000009838: BF800000
	v_cndmask_b32_e64 v113, v66, v113, s[40:41]                // 00000000983C: D1000071 00A2E342
	v_cmp_le_u32_e64 s[40:41], v242, v64                       // 000000009844: D0CB0028 000281F2
	v_add_u32_e32 v242, 64, v242                               // 00000000984C: 69E5E4C0
	s_nop 0                                                    // 000000009850: BF800000
	v_cndmask_b32_e64 v114, v66, v114, s[40:41]                // 000000009854: D1000072 00A2E542
	v_cmp_le_u32_e64 s[40:41], v243, v64                       // 00000000985C: D0CB0028 000281F3
	v_add_u32_e32 v243, 64, v243                               // 000000009864: 69E7E6C0
	s_nop 0                                                    // 000000009868: BF800000
	v_cndmask_b32_e64 v115, v66, v115, s[40:41]                // 00000000986C: D1000073 00A2E742
	v_cmp_le_u32_e64 s[40:41], v240, v64                       // 000000009874: D0CB0028 000281F0
	v_add_u32_e32 v240, 64, v240                               // 00000000987C: 69E1E0C0
	s_nop 0                                                    // 000000009880: BF800000
	v_cndmask_b32_e64 v116, v66, v116, s[40:41]                // 000000009884: D1000074 00A2E942
	v_cmp_le_u32_e64 s[40:41], v241, v64                       // 00000000988C: D0CB0028 000281F1
	v_add_u32_e32 v241, 64, v241                               // 000000009894: 69E3E2C0
	s_nop 0                                                    // 000000009898: BF800000
	v_cndmask_b32_e64 v117, v66, v117, s[40:41]                // 00000000989C: D1000075 00A2EB42
	v_cmp_le_u32_e64 s[40:41], v242, v64                       // 0000000098A4: D0CB0028 000281F2
	v_add_u32_e32 v242, 64, v242                               // 0000000098AC: 69E5E4C0
	s_nop 0                                                    // 0000000098B0: BF800000
	v_cndmask_b32_e64 v118, v66, v118, s[40:41]                // 0000000098B4: D1000076 00A2ED42
	v_cmp_le_u32_e64 s[40:41], v243, v64                       // 0000000098BC: D0CB0028 000281F3
	v_add_u32_e32 v243, 64, v243                               // 0000000098C4: 69E7E6C0
	s_nop 0                                                    // 0000000098C8: BF800000
	v_cndmask_b32_e64 v119, v66, v119, s[40:41]                // 0000000098CC: D1000077 00A2EF42
	v_cmp_le_u32_e64 s[40:41], v240, v64                       // 0000000098D4: D0CB0028 000281F0
	v_add_u32_e32 v240, 64, v240                               // 0000000098DC: 69E1E0C0
	s_nop 0                                                    // 0000000098E0: BF800000
	v_cndmask_b32_e64 v120, v66, v120, s[40:41]                // 0000000098E4: D1000078 00A2F142
	v_cmp_le_u32_e64 s[40:41], v241, v64                       // 0000000098EC: D0CB0028 000281F1
	v_add_u32_e32 v241, 64, v241                               // 0000000098F4: 69E3E2C0
	s_nop 0                                                    // 0000000098F8: BF800000
	v_cndmask_b32_e64 v121, v66, v121, s[40:41]                // 0000000098FC: D1000079 00A2F342
	v_cmp_le_u32_e64 s[40:41], v242, v64                       // 000000009904: D0CB0028 000281F2
	v_add_u32_e32 v242, 64, v242                               // 00000000990C: 69E5E4C0
	s_nop 0                                                    // 000000009910: BF800000
	v_cndmask_b32_e64 v122, v66, v122, s[40:41]                // 000000009914: D100007A 00A2F542
	v_cmp_le_u32_e64 s[40:41], v243, v64                       // 00000000991C: D0CB0028 000281F3
	v_add_u32_e32 v243, 64, v243                               // 000000009924: 69E7E6C0
	s_nop 0                                                    // 000000009928: BF800000
	v_cndmask_b32_e64 v123, v66, v123, s[40:41]                // 00000000992C: D100007B 00A2F742
	v_cmp_le_u32_e64 s[40:41], v240, v64                       // 000000009934: D0CB0028 000281F0
	v_add_u32_e32 v240, 64, v240                               // 00000000993C: 69E1E0C0
	s_nop 0                                                    // 000000009940: BF800000
	v_cndmask_b32_e64 v124, v66, v124, s[40:41]                // 000000009944: D100007C 00A2F942
	v_cmp_le_u32_e64 s[40:41], v241, v64                       // 00000000994C: D0CB0028 000281F1
	v_add_u32_e32 v241, 64, v241                               // 000000009954: 69E3E2C0
	s_nop 0                                                    // 000000009958: BF800000
	v_cndmask_b32_e64 v125, v66, v125, s[40:41]                // 00000000995C: D100007D 00A2FB42
	v_cmp_le_u32_e64 s[40:41], v242, v64                       // 000000009964: D0CB0028 000281F2
	v_add_u32_e32 v242, 64, v242                               // 00000000996C: 69E5E4C0
	s_nop 0                                                    // 000000009970: BF800000
	v_cndmask_b32_e64 v126, v66, v126, s[40:41]                // 000000009974: D100007E 00A2FD42
	v_cmp_le_u32_e64 s[40:41], v243, v64                       // 00000000997C: D0CB0028 000281F3
	v_add_u32_e32 v243, 64, v243                               // 000000009984: 69E7E6C0
	s_nop 0                                                    // 000000009988: BF800000
	v_cndmask_b32_e64 v127, v66, v127, s[40:41]                // 00000000998C: D100007F 00A2FF42

0000000000009994 <label_1DE5>:
	v_mov_b32_e32 v48, v112                                    // 000000009994: 7E600370
	v_max3_f32 v48, v112, v113, v48                            // 000000009998: D1D30030 04C2E370
	v_max3_f32 v48, v114, v115, v48                            // 0000000099A0: D1D30030 04C2E772
	v_max3_f32 v48, v116, v117, v48                            // 0000000099A8: D1D30030 04C2EB74
	v_max3_f32 v48, v118, v119, v48                            // 0000000099B0: D1D30030 04C2EF76
	v_max3_f32 v48, v120, v121, v48                            // 0000000099B8: D1D30030 04C2F378
	v_max3_f32 v48, v122, v123, v48                            // 0000000099C0: D1D30030 04C2F77A
	v_max3_f32 v48, v124, v125, v48                            // 0000000099C8: D1D30030 04C2FB7C
	v_max3_f32 v48, v126, v127, v48                            // 0000000099D0: D1D30030 04C2FF7E
	ds_write_b32 v8, v48 offset:16896                          // 0000000099D8: D81A4200 00003008
	buffer_load_dwordx4 a[24:27], v25, s[16:19], 0 offen       // 0000000099E0: E05C1000 80841819
	v_mul_u32_u24_dpp v64, v16, v54 row_newbcast:1 row_mask:0xf bank_mask:0xf// 0000000099E8: 10806CFA FF015110
	v_mul_u32_u24_dpp v65, v16, v54 row_newbcast:5 row_mask:0xf bank_mask:0xf// 0000000099F0: 10826CFA FF015510
	v_mul_u32_u24_dpp v66, v16, v54 row_newbcast:9 row_mask:0xf bank_mask:0xf// 0000000099F8: 10846CFA FF015910
	v_mul_u32_u24_dpp v67, v16, v54 row_newbcast:13 row_mask:0xf bank_mask:0xf// 000000009A00: 10866CFA FF015D10
	v_add_u32_e32 v30, v64, v6                                 // 000000009A08: 683C0D40
	v_add_u32_e32 v31, v65, v6                                 // 000000009A0C: 683E0D41
	v_add_u32_e32 v32, v66, v6                                 // 000000009A10: 68400D42
	v_add_u32_e32 v33, v67, v6                                 // 000000009A14: 68420D43
	v_mul_f32_e32 v208, v49, v208                              // 000000009A18: 0BA1A131
	v_mul_f32_e32 v209, v49, v209                              // 000000009A1C: 0BA3A331
	v_mul_f32_e32 v210, v49, v210                              // 000000009A20: 0BA5A531
	v_mul_f32_e32 v211, v49, v211                              // 000000009A24: 0BA7A731
	v_mul_f32_e32 v212, v49, v212                              // 000000009A28: 0BA9A931
	v_mul_f32_e32 v213, v49, v213                              // 000000009A2C: 0BABAB31
	v_mul_f32_e32 v214, v49, v214                              // 000000009A30: 0BADAD31
	v_mul_f32_e32 v215, v49, v215                              // 000000009A34: 0BAFAF31
	s_waitcnt lgkmcnt(0)                                       // 000000009A38: BF8CC07F
	s_barrier                                                  // 000000009A3C: BF8A0000
	ds_read_b32 v64, v7 offset:16896                           // 000000009A40: D86C4200 40000007
	ds_read_b32 v65, v7 offset:16960                           // 000000009A48: D86C4240 41000007
	ds_read_b32 v66, v7 offset:17024                           // 000000009A50: D86C4280 42000007
	ds_read_b32 v67, v7 offset:17088                           // 000000009A58: D86C42C0 43000007
	ds_read_b32 v68, v7 offset:17152                           // 000000009A60: D86C4300 44000007
	ds_read_b32 v69, v7 offset:17216                           // 000000009A68: D86C4340 45000007
	ds_read_b32 v70, v7 offset:17280                           // 000000009A70: D86C4380 46000007
	ds_read_b32 v71, v7 offset:17344                           // 000000009A78: D86C43C0 47000007
	ds_read_b32 v72, v7 offset:17408                           // 000000009A80: D86C4400 48000007
	ds_read_b32 v73, v7 offset:17472                           // 000000009A88: D86C4440 49000007
	ds_read_b32 v74, v7 offset:17536                           // 000000009A90: D86C4480 4A000007
	ds_read_b32 v75, v7 offset:17600                           // 000000009A98: D86C44C0 4B000007
	ds_read_b32 v76, v7 offset:17664                           // 000000009AA0: D86C4500 4C000007
	ds_read_b32 v77, v7 offset:17728                           // 000000009AA8: D86C4540 4D000007
	ds_read_b32 v78, v7 offset:17792                           // 000000009AB0: D86C4580 4E000007
	ds_read_b32 v79, v7 offset:17856                           // 000000009AB8: D86C45C0 4F000007
	buffer_load_dwordx4 a[28:31], v25, s[16:19], 0 offen offset:1024// 000000009AC0: E05C1400 80841C19
	v_cvt_f32_i32_e32 v176, v176                               // 000000009AC8: 7F600BB0
	v_cvt_f32_i32_e32 v177, v177                               // 000000009ACC: 7F620BB1
	v_cvt_f32_i32_e32 v178, v178                               // 000000009AD0: 7F640BB2
	v_cvt_f32_i32_e32 v179, v179                               // 000000009AD4: 7F660BB3
	v_cvt_f32_i32_e32 v180, v180                               // 000000009AD8: 7F680BB4
	v_cvt_f32_i32_e32 v181, v181                               // 000000009ADC: 7F6A0BB5
	v_cvt_f32_i32_e32 v182, v182                               // 000000009AE0: 7F6C0BB6
	v_cvt_f32_i32_e32 v183, v183                               // 000000009AE4: 7F6E0BB7
	v_mul_f32_e32 v176, v44, v176                              // 000000009AE8: 0B61612C
	v_mul_f32_e32 v177, v44, v177                              // 000000009AEC: 0B63632C
	v_mul_f32_e32 v178, v44, v178                              // 000000009AF0: 0B65652C
	v_mul_f32_e32 v179, v44, v179                              // 000000009AF4: 0B67672C
	v_mul_f32_e32 v180, v44, v180                              // 000000009AF8: 0B69692C
	v_mul_f32_e32 v181, v44, v181                              // 000000009AFC: 0B6B6B2C
	v_mul_f32_e32 v182, v44, v182                              // 000000009B00: 0B6D6D2C
	v_mul_f32_e32 v183, v44, v183                              // 000000009B04: 0B6F6F2C
	s_waitcnt lgkmcnt(0)                                       // 000000009B08: BF8CC07F
	v_max3_f32 v48, v64, v65, v48                              // 000000009B0C: D1D30030 04C28340
	v_max3_f32 v48, v66, v67, v48                              // 000000009B14: D1D30030 04C28742
	v_max3_f32 v48, v68, v69, v48                              // 000000009B1C: D1D30030 04C28B44
	v_max3_f32 v48, v70, v71, v48                              // 000000009B24: D1D30030 04C28F46
	v_max3_f32 v48, v72, v73, v48                              // 000000009B2C: D1D30030 04C29348
	v_max3_f32 v48, v74, v75, v48                              // 000000009B34: D1D30030 04C2974A
	v_max3_f32 v48, v76, v77, v48                              // 000000009B3C: D1D30030 04C29B4C
	v_max3_f32 v48, v78, v79, v48                              // 000000009B44: D1D30030 04C29F4E
	buffer_load_dwordx4 a[64:67], v30, s[20:23], 0 offen       // 000000009B4C: E05C1000 8085401E
	v_mov_b32_e32 v64, 0xff800000                              // 000000009B54: 7E8002FF FF800000
	v_cmp_eq_u32_e64 s[40:41], v64, v11                        // 000000009B5C: D0CA0028 00021740
	s_nop 1                                                    // 000000009B64: BF800001
	v_max_f32_e32 v15, v48, v11                                // 000000009B68: 161E1730
	v_mul_f32_e32 v53, s64, v15                                // 000000009B6C: 0A6A1E40
	v_fma_f32 v112, v112, s64, -v53                            // 000000009B70: D1CB0070 84D48170
	v_fma_f32 v113, v113, s64, -v53                            // 000000009B78: D1CB0071 84D48171
	v_fma_f32 v114, v114, s64, -v53                            // 000000009B80: D1CB0072 84D48172
	v_fma_f32 v115, v115, s64, -v53                            // 000000009B88: D1CB0073 84D48173
	v_fma_f32 v116, v116, s64, -v53                            // 000000009B90: D1CB0074 84D48174
	v_fma_f32 v117, v117, s64, -v53                            // 000000009B98: D1CB0075 84D48175
	v_fma_f32 v118, v118, s64, -v53                            // 000000009BA0: D1CB0076 84D48176
	v_fma_f32 v119, v119, s64, -v53                            // 000000009BA8: D1CB0077 84D48177
	v_fma_f32 v120, v120, s64, -v53                            // 000000009BB0: D1CB0078 84D48178
	v_fma_f32 v121, v121, s64, -v53                            // 000000009BB8: D1CB0079 84D48179
	v_fma_f32 v122, v122, s64, -v53                            // 000000009BC0: D1CB007A 84D4817A
	v_fma_f32 v123, v123, s64, -v53                            // 000000009BC8: D1CB007B 84D4817B
	v_fma_f32 v124, v124, s64, -v53                            // 000000009BD0: D1CB007C 84D4817C
	v_fma_f32 v125, v125, s64, -v53                            // 000000009BD8: D1CB007D 84D4817D
	v_fma_f32 v126, v126, s64, -v53                            // 000000009BE0: D1CB007E 84D4817E
	v_fma_f32 v127, v127, s64, -v53                            // 000000009BE8: D1CB007F 84D4817F
	buffer_load_dwordx4 a[68:71], v31, s[20:23], 0 offen       // 000000009BF0: E05C1000 8085441F
	v_exp_f32_e32 v112, v112                                   // 000000009BF8: 7EE04170
	v_exp_f32_e32 v113, v113                                   // 000000009BFC: 7EE24171
	v_exp_f32_e32 v114, v114                                   // 000000009C00: 7EE44172
	v_exp_f32_e32 v115, v115                                   // 000000009C04: 7EE64173
	v_exp_f32_e32 v116, v116                                   // 000000009C08: 7EE84174
	v_exp_f32_e32 v117, v117                                   // 000000009C0C: 7EEA4175
	v_exp_f32_e32 v118, v118                                   // 000000009C10: 7EEC4176
	v_exp_f32_e32 v119, v119                                   // 000000009C14: 7EEE4177
	v_exp_f32_e32 v120, v120                                   // 000000009C18: 7EF04178
	v_exp_f32_e32 v121, v121                                   // 000000009C1C: 7EF24179
	v_exp_f32_e32 v122, v122                                   // 000000009C20: 7EF4417A
	v_exp_f32_e32 v123, v123                                   // 000000009C24: 7EF6417B
	v_exp_f32_e32 v124, v124                                   // 000000009C28: 7EF8417C
	v_exp_f32_e32 v125, v125                                   // 000000009C2C: 7EFA417D
	v_exp_f32_e32 v126, v126                                   // 000000009C30: 7EFC417E
	v_exp_f32_e32 v127, v127                                   // 000000009C34: 7EFE417F
	buffer_load_dwordx4 a[72:75], v32, s[20:23], 0 offen       // 000000009C38: E05C1000 80854820
	v_mul_f32_dpp v240, v252, v112 quad_perm:[0,0,0,0] row_mask:0xf bank_mask:0xf// 000000009C40: 0BE0E0FA FF0000FC
	v_mul_f32_dpp v241, v252, v113 quad_perm:[1,1,1,1] row_mask:0xf bank_mask:0xf// 000000009C48: 0BE2E2FA FF0055FC
	v_mul_f32_dpp v242, v252, v114 quad_perm:[2,2,2,2] row_mask:0xf bank_mask:0xf// 000000009C50: 0BE4E4FA FF00AAFC
	v_mul_f32_dpp v243, v252, v115 quad_perm:[3,3,3,3] row_mask:0xf bank_mask:0xf// 000000009C58: 0BE6E6FA FF00FFFC
	v_mul_f32_dpp v244, v253, v116 quad_perm:[0,0,0,0] row_mask:0xf bank_mask:0xf// 000000009C60: 0BE8E8FA FF0000FD
	v_mul_f32_dpp v245, v253, v117 quad_perm:[1,1,1,1] row_mask:0xf bank_mask:0xf// 000000009C68: 0BEAEAFA FF0055FD
	v_mul_f32_dpp v246, v253, v118 quad_perm:[2,2,2,2] row_mask:0xf bank_mask:0xf// 000000009C70: 0BECECFA FF00AAFD
	v_mul_f32_dpp v247, v253, v119 quad_perm:[3,3,3,3] row_mask:0xf bank_mask:0xf// 000000009C78: 0BEEEEFA FF00FFFD
	v_mul_f32_dpp v248, v254, v120 quad_perm:[0,0,0,0] row_mask:0xf bank_mask:0xf// 000000009C80: 0BF0F0FA FF0000FE
	v_mul_f32_dpp v249, v254, v121 quad_perm:[1,1,1,1] row_mask:0xf bank_mask:0xf// 000000009C88: 0BF2F2FA FF0055FE
	v_mul_f32_dpp v250, v254, v122 quad_perm:[2,2,2,2] row_mask:0xf bank_mask:0xf// 000000009C90: 0BF4F4FA FF00AAFE
	v_mul_f32_dpp v251, v254, v123 quad_perm:[3,3,3,3] row_mask:0xf bank_mask:0xf// 000000009C98: 0BF6F6FA FF00FFFE
	v_mul_f32_dpp v252, v255, v124 quad_perm:[0,0,0,0] row_mask:0xf bank_mask:0xf// 000000009CA0: 0BF8F8FA FF0000FF
	v_mul_f32_dpp v253, v255, v125 quad_perm:[1,1,1,1] row_mask:0xf bank_mask:0xf// 000000009CA8: 0BFAFAFA FF0055FF
	v_mul_f32_dpp v254, v255, v126 quad_perm:[2,2,2,2] row_mask:0xf bank_mask:0xf// 000000009CB0: 0BFCFCFA FF00AAFF
	v_mul_f32_dpp v255, v255, v127 quad_perm:[3,3,3,3] row_mask:0xf bank_mask:0xf// 000000009CB8: 0BFEFEFA FF00FFFF
	v_mov_b32_e32 v48, 0x358637bd                              // 000000009CC0: 7E6002FF 358637BD
	v_max3_f32 v48, |v240|, |v241|, v48                        // 000000009CC8: D1D30330 04C3E3F0
	v_max3_f32 v48, |v242|, |v243|, v48                        // 000000009CD0: D1D30330 04C3E7F2
	v_max3_f32 v48, |v244|, |v245|, v48                        // 000000009CD8: D1D30330 04C3EBF4
	v_max3_f32 v48, |v246|, |v247|, v48                        // 000000009CE0: D1D30330 04C3EFF6
	v_max3_f32 v48, |v248|, |v249|, v48                        // 000000009CE8: D1D30330 04C3F3F8
	v_max3_f32 v48, |v250|, |v251|, v48                        // 000000009CF0: D1D30330 04C3F7FA
	v_max3_f32 v48, |v252|, |v253|, v48                        // 000000009CF8: D1D30330 04C3FBFC
	v_max3_f32 v48, |v254|, |v255|, v48                        // 000000009D00: D1D30330 04C3FFFE
	buffer_load_dwordx4 a[76:79], v33, s[20:23], 0 offen       // 000000009D08: E05C1000 80854C21
	ds_write_b32 v8, v48 offset:20992                          // 000000009D10: D81A5200 00003008
	v_sub_f32_e32 v49, v11, v15                                // 000000009D18: 04621F0B
	v_cndmask_b32_e64 v49, v49, 0, s[40:41]                    // 000000009D1C: D1000031 00A10131
	v_mov_b32_e32 v11, v15                                     // 000000009D24: 7E16030F
	v_mul_f32_e32 v49, s64, v49                                // 000000009D28: 0A626240
	v_exp_f32_e32 v49, v49                                     // 000000009D2C: 7E624131
	s_waitcnt lgkmcnt(0)                                       // 000000009D30: BF8CC07F
	s_barrier                                                  // 000000009D34: BF8A0000
	ds_read_b32 v64, v7 offset:20992                           // 000000009D38: D86C5200 40000007
	ds_read_b32 v65, v7 offset:21056                           // 000000009D40: D86C5240 41000007
	ds_read_b32 v66, v7 offset:21120                           // 000000009D48: D86C5280 42000007
	ds_read_b32 v67, v7 offset:21184                           // 000000009D50: D86C52C0 43000007
	ds_read_b32 v68, v7 offset:21248                           // 000000009D58: D86C5300 44000007
	ds_read_b32 v69, v7 offset:21312                           // 000000009D60: D86C5340 45000007
	ds_read_b32 v70, v7 offset:21376                           // 000000009D68: D86C5380 46000007
	ds_read_b32 v71, v7 offset:21440                           // 000000009D70: D86C53C0 47000007
	ds_read_b32 v72, v7 offset:21504                           // 000000009D78: D86C5400 48000007
	ds_read_b32 v73, v7 offset:21568                           // 000000009D80: D86C5440 49000007
	ds_read_b32 v74, v7 offset:21632                           // 000000009D88: D86C5480 4A000007
	ds_read_b32 v75, v7 offset:21696                           // 000000009D90: D86C54C0 4B000007
	ds_read_b32 v76, v7 offset:21760                           // 000000009D98: D86C5500 4C000007
	ds_read_b32 v77, v7 offset:21824                           // 000000009DA0: D86C5540 4D000007
	ds_read_b32 v78, v7 offset:21888                           // 000000009DA8: D86C5580 4E000007
	ds_read_b32 v79, v7 offset:21952                           // 000000009DB0: D86C55C0 4F000007
	v_mul_f32_e32 v38, v49, v38                                // 000000009DB8: 0A4C4D31
	v_mov_b32_e32 v15, v112                                    // 000000009DBC: 7E1E0370
	v_add_f32_e32 v15, v113, v15                               // 000000009DC0: 021E1F71
	v_add_f32_e32 v15, v114, v15                               // 000000009DC4: 021E1F72
	v_add_f32_e32 v15, v115, v15                               // 000000009DC8: 021E1F73
	v_add_f32_e32 v15, v116, v15                               // 000000009DCC: 021E1F74
	v_add_f32_e32 v15, v117, v15                               // 000000009DD0: 021E1F75
	v_add_f32_e32 v15, v118, v15                               // 000000009DD4: 021E1F76
	v_add_f32_e32 v15, v119, v15                               // 000000009DD8: 021E1F77
	v_add_f32_e32 v15, v120, v15                               // 000000009DDC: 021E1F78
	v_add_f32_e32 v15, v121, v15                               // 000000009DE0: 021E1F79
	v_add_f32_e32 v15, v122, v15                               // 000000009DE4: 021E1F7A
	v_add_f32_e32 v15, v123, v15                               // 000000009DE8: 021E1F7B
	v_add_f32_e32 v15, v124, v15                               // 000000009DEC: 021E1F7C
	v_add_f32_e32 v15, v125, v15                               // 000000009DF0: 021E1F7D
	v_add_f32_e32 v15, v126, v15                               // 000000009DF4: 021E1F7E
	v_add_f32_e32 v15, v127, v15                               // 000000009DF8: 021E1F7F
	v_add_f32_e32 v38, v15, v38                                // 000000009DFC: 024C4D0F
	s_waitcnt lgkmcnt(0)                                       // 000000009E00: BF8CC07F
	v_max3_f32 v48, |v64|, |v65|, v48                          // 000000009E04: D1D30330 04C28340
	v_max3_f32 v48, |v66|, |v67|, v48                          // 000000009E0C: D1D30330 04C28742
	v_max3_f32 v48, |v68|, |v69|, v48                          // 000000009E14: D1D30330 04C28B44
	v_max3_f32 v48, |v70|, |v71|, v48                          // 000000009E1C: D1D30330 04C28F46
	v_max3_f32 v48, |v72|, |v73|, v48                          // 000000009E24: D1D30330 04C29348
	v_max3_f32 v48, |v74|, |v75|, v48                          // 000000009E2C: D1D30330 04C2974A
	v_max3_f32 v48, |v76|, |v77|, v48                          // 000000009E34: D1D30330 04C29B4C
	v_max3_f32 v48, |v78|, |v79|, v48                          // 000000009E3C: D1D30330 04C29F4E
	s_nop 2                                                    // 000000009E44: BF800002
	v_rcp_f32_e32 v48, v48                                     // 000000009E48: 7E604530
	s_nop 1                                                    // 000000009E4C: BF800001
	v_mul_f32_e32 v48, 0x42fe0000, v48                         // 000000009E50: 0A6060FF 42FE0000
	v_mul_f32_e32 v112, v48, v240                              // 000000009E58: 0AE1E130
	v_mul_f32_e32 v113, v48, v241                              // 000000009E5C: 0AE3E330
	v_mul_f32_e32 v114, v48, v242                              // 000000009E60: 0AE5E530
	v_mul_f32_e32 v115, v48, v243                              // 000000009E64: 0AE7E730
	v_mul_f32_e32 v116, v48, v244                              // 000000009E68: 0AE9E930
	v_mul_f32_e32 v117, v48, v245                              // 000000009E6C: 0AEBEB30
	v_mul_f32_e32 v118, v48, v246                              // 000000009E70: 0AEDED30
	v_mul_f32_e32 v119, v48, v247                              // 000000009E74: 0AEFEF30
	v_mul_f32_e32 v120, v48, v248                              // 000000009E78: 0AF1F130
	v_mul_f32_e32 v121, v48, v249                              // 000000009E7C: 0AF3F330
	v_mul_f32_e32 v122, v48, v250                              // 000000009E80: 0AF5F530
	v_mul_f32_e32 v123, v48, v251                              // 000000009E84: 0AF7F730
	v_mul_f32_e32 v124, v48, v252                              // 000000009E88: 0AF9F930
	v_mul_f32_e32 v125, v48, v253                              // 000000009E8C: 0AFBFB30
	v_mul_f32_e32 v126, v48, v254                              // 000000009E90: 0AFDFD30
	v_mul_f32_e32 v127, v48, v255                              // 000000009E94: 0AFFFF30
	v_cvt_i32_f32_e32 v112, v112                               // 000000009E98: 7EE01170
	v_cvt_i32_f32_e32 v113, v113                               // 000000009E9C: 7EE21171
	v_cvt_i32_f32_e32 v114, v114                               // 000000009EA0: 7EE41172
	v_cvt_i32_f32_e32 v115, v115                               // 000000009EA4: 7EE61173
	v_cvt_i32_f32_e32 v116, v116                               // 000000009EA8: 7EE81174
	v_cvt_i32_f32_e32 v117, v117                               // 000000009EAC: 7EEA1175
	v_cvt_i32_f32_e32 v118, v118                               // 000000009EB0: 7EEC1176
	v_cvt_i32_f32_e32 v119, v119                               // 000000009EB4: 7EEE1177
	v_cvt_i32_f32_e32 v120, v120                               // 000000009EB8: 7EF01178
	v_cvt_i32_f32_e32 v121, v121                               // 000000009EBC: 7EF21179
	v_cvt_i32_f32_e32 v122, v122                               // 000000009EC0: 7EF4117A
	v_cvt_i32_f32_e32 v123, v123                               // 000000009EC4: 7EF6117B
	v_cvt_i32_f32_e32 v124, v124                               // 000000009EC8: 7EF8117C
	v_cvt_i32_f32_e32 v125, v125                               // 000000009ECC: 7EFA117D
	v_cvt_i32_f32_e32 v126, v126                               // 000000009ED0: 7EFC117E
	v_cvt_i32_f32_e32 v127, v127                               // 000000009ED4: 7EFE117F
	v_perm_b32 v112, v113, v112, s53                           // 000000009ED8: D1ED0070 00D6E171
	v_perm_b32 v112, v114, v112, s54                           // 000000009EE0: D1ED0070 00DAE172
	v_perm_b32 v112, v115, v112, s55                           // 000000009EE8: D1ED0070 00DEE173
	v_perm_b32 v113, v117, v116, s53                           // 000000009EF0: D1ED0071 00D6E975
	v_perm_b32 v113, v118, v113, s54                           // 000000009EF8: D1ED0071 00DAE376
	v_perm_b32 v113, v119, v113, s55                           // 000000009F00: D1ED0071 00DEE377
	v_perm_b32 v114, v121, v120, s53                           // 000000009F08: D1ED0072 00D6F179
	v_perm_b32 v114, v122, v114, s54                           // 000000009F10: D1ED0072 00DAE57A
	v_perm_b32 v114, v123, v114, s55                           // 000000009F18: D1ED0072 00DEE57B
	v_perm_b32 v115, v125, v124, s53                           // 000000009F20: D1ED0073 00D6F97D
	v_perm_b32 v115, v126, v115, s54                           // 000000009F28: D1ED0073 00DAE77E
	v_perm_b32 v115, v127, v115, s55                           // 000000009F30: D1ED0073 00DEE77F
	ds_write_b32 v10, v112 offset:25088                        // 000000009F38: D81A6200 0000700A
	ds_write_b32 v10, v113 offset:26112                        // 000000009F40: D81A6600 0000710A
	ds_write_b32 v10, v114 offset:27136                        // 000000009F48: D81A6A00 0000720A
	ds_write_b32 v10, v115 offset:28160                        // 000000009F50: D81A6E00 0000730A
	v_add_f32_e32 v208, v208, v176                             // 000000009F58: 03A161D0
	v_add_f32_e32 v209, v209, v177                             // 000000009F5C: 03A363D1
	v_add_f32_e32 v210, v210, v178                             // 000000009F60: 03A565D2
	v_add_f32_e32 v211, v211, v179                             // 000000009F64: 03A767D3
	v_add_f32_e32 v212, v212, v180                             // 000000009F68: 03A969D4
	v_add_f32_e32 v213, v213, v181                             // 000000009F6C: 03AB6BD5
	v_add_f32_e32 v214, v214, v182                             // 000000009F70: 03AD6DD6
	v_add_f32_e32 v215, v215, v183                             // 000000009F74: 03AF6FD7
	v_rcp_f32_e32 v44, v48                                     // 000000009F78: 7E584530
	s_waitcnt lgkmcnt(0)                                       // 000000009F7C: BF8CC07F
	s_barrier                                                  // 000000009F80: BF8A0000
	ds_read_b64 v[112:113], v9 offset:25088                    // 000000009F84: D8EC6200 70000009
	ds_read_b64 v[114:115], v9 offset:25216                    // 000000009F8C: D8EC6280 72000009
	ds_read_b64 v[116:117], v9 offset:26112                    // 000000009F94: D8EC6600 74000009
	ds_read_b64 v[118:119], v9 offset:26240                    // 000000009F9C: D8EC6680 76000009
	ds_read_b64 v[120:121], v9 offset:27136                    // 000000009FA4: D8EC6A00 78000009
	ds_read_b64 v[122:123], v9 offset:27264                    // 000000009FAC: D8EC6A80 7A000009
	ds_read_b64 v[124:125], v9 offset:28160                    // 000000009FB4: D8EC6E00 7C000009
	ds_read_b64 v[126:127], v9 offset:28288                    // 000000009FBC: D8EC6E80 7E000009
	v_mov_b32_dpp v64, v43 row_shr:4 row_mask:0xf bank_mask:0xf// 000000009FC4: 7E8002FA FF01142B
	v_mov_b32_dpp v65, v43 row_shl:4 row_mask:0xf bank_mask:0xf// 000000009FCC: 7E8202FA FF01042B
	v_cndmask_b32_e64 v248, v43, v64, s[44:45]                 // 000000009FD4: D10000F8 00B2812B
	v_cndmask_b32_e64 v249, v65, v43, s[44:45]                 // 000000009FDC: D10000F9 00B25741
	v_mov_b32_dpp v64, v248 row_shr:8 row_mask:0xf bank_mask:0xf// 000000009FE4: 7E8002FA FF0118F8
	v_mov_b32_dpp v65, v248 row_shl:8 row_mask:0xf bank_mask:0xf// 000000009FEC: 7E8202FA FF0108F8
	v_mov_b32_dpp v66, v249 row_shr:8 row_mask:0xf bank_mask:0xf// 000000009FF4: 7E8402FA FF0118F9
	v_mov_b32_dpp v67, v249 row_shl:8 row_mask:0xf bank_mask:0xf// 000000009FFC: 7E8602FA FF0108F9
	v_mov_b32_e32 v68, v248                                    // 00000000A004: 7E8803F8
	v_mov_b32_e32 v69, v249                                    // 00000000A008: 7E8A03F9
	v_cndmask_b32_e64 v248, v68, v64, s[42:43]                 // 00000000A00C: D10000F8 00AA8144
	v_cndmask_b32_e64 v250, v68, v65, s[78:79]                 // 00000000A014: D10000FA 013A8344
	v_cndmask_b32_e64 v249, v69, v66, s[42:43]                 // 00000000A01C: D10000F9 00AA8545
	v_cndmask_b32_e64 v251, v69, v67, s[78:79]                 // 00000000A024: D10000FB 013A8745
	v_mov_b32_dpp v64, v58 row_shr:4 row_mask:0xf bank_mask:0xf// 00000000A02C: 7E8002FA FF01143A
	v_mov_b32_dpp v65, v58 row_shl:4 row_mask:0xf bank_mask:0xf// 00000000A034: 7E8202FA FF01043A
	v_cndmask_b32_e64 v252, v58, v64, s[44:45]                 // 00000000A03C: D10000FC 00B2813A
	v_cndmask_b32_e64 v253, v65, v58, s[44:45]                 // 00000000A044: D10000FD 00B27541
	v_mov_b32_dpp v64, v252 row_shr:8 row_mask:0xf bank_mask:0xf// 00000000A04C: 7E8002FA FF0118FC
	v_mov_b32_dpp v65, v252 row_shl:8 row_mask:0xf bank_mask:0xf// 00000000A054: 7E8202FA FF0108FC
	v_mov_b32_dpp v66, v253 row_shr:8 row_mask:0xf bank_mask:0xf// 00000000A05C: 7E8402FA FF0118FD
	v_mov_b32_dpp v67, v253 row_shl:8 row_mask:0xf bank_mask:0xf// 00000000A064: 7E8602FA FF0108FD
	v_mov_b32_e32 v68, v252                                    // 00000000A06C: 7E8803FC
	v_mov_b32_e32 v69, v253                                    // 00000000A070: 7E8A03FD
	v_cndmask_b32_e64 v252, v68, v64, s[42:43]                 // 00000000A074: D10000FC 00AA8144
	v_cndmask_b32_e64 v254, v68, v65, s[78:79]                 // 00000000A07C: D10000FE 013A8344
	v_cndmask_b32_e64 v253, v69, v66, s[42:43]                 // 00000000A084: D10000FD 00AA8545
	v_cndmask_b32_e64 v255, v69, v67, s[78:79]                 // 00000000A08C: D10000FF 013A8745
	v_cvt_f32_i32_e32 v128, v128                               // 00000000A094: 7F000B80
	v_cvt_f32_i32_e32 v129, v129                               // 00000000A098: 7F020B81
	v_cvt_f32_i32_e32 v130, v130                               // 00000000A09C: 7F040B82
	v_cvt_f32_i32_e32 v131, v131                               // 00000000A0A0: 7F060B83
	v_cvt_f32_i32_e32 v132, v132                               // 00000000A0A4: 7F080B84
	v_cvt_f32_i32_e32 v133, v133                               // 00000000A0A8: 7F0A0B85
	v_cvt_f32_i32_e32 v134, v134                               // 00000000A0AC: 7F0C0B86
	v_cvt_f32_i32_e32 v135, v135                               // 00000000A0B0: 7F0E0B87
	v_cvt_f32_i32_e32 v136, v136                               // 00000000A0B4: 7F100B88
	v_cvt_f32_i32_e32 v137, v137                               // 00000000A0B8: 7F120B89
	v_cvt_f32_i32_e32 v138, v138                               // 00000000A0BC: 7F140B8A
	v_cvt_f32_i32_e32 v139, v139                               // 00000000A0C0: 7F160B8B
	v_cvt_f32_i32_e32 v140, v140                               // 00000000A0C4: 7F180B8C
	v_cvt_f32_i32_e32 v141, v141                               // 00000000A0C8: 7F1A0B8D
	v_cvt_f32_i32_e32 v142, v142                               // 00000000A0CC: 7F1C0B8E
	v_cvt_f32_i32_e32 v143, v143                               // 00000000A0D0: 7F1E0B8F
	v_mul_f32_e32 v128, v19, v128                              // 00000000A0D4: 0B010113
	v_mul_f32_e32 v129, v19, v129                              // 00000000A0D8: 0B030313
	v_mul_f32_e32 v130, v19, v130                              // 00000000A0DC: 0B050513
	v_mul_f32_e32 v131, v19, v131                              // 00000000A0E0: 0B070713
	v_mul_f32_e32 v132, v19, v132                              // 00000000A0E4: 0B090913
	v_mul_f32_e32 v133, v19, v133                              // 00000000A0E8: 0B0B0B13
	v_mul_f32_e32 v134, v19, v134                              // 00000000A0EC: 0B0D0D13
	v_mul_f32_e32 v135, v19, v135                              // 00000000A0F0: 0B0F0F13
	v_mul_f32_e32 v136, v19, v136                              // 00000000A0F4: 0B111113
	v_mul_f32_e32 v137, v19, v137                              // 00000000A0F8: 0B131313
	v_mul_f32_e32 v138, v19, v138                              // 00000000A0FC: 0B151513
	v_mul_f32_e32 v139, v19, v139                              // 00000000A100: 0B171713
	v_mul_f32_e32 v140, v19, v140                              // 00000000A104: 0B191913
	v_mul_f32_e32 v141, v19, v141                              // 00000000A108: 0B1B1B13
	v_mul_f32_e32 v142, v19, v142                              // 00000000A10C: 0B1D1D13
	v_mul_f32_e32 v143, v19, v143                              // 00000000A110: 0B1F1F13
	v_mul_f32_dpp v128, v248, v128 quad_perm:[0,0,0,0] row_mask:0xf bank_mask:0xf// 00000000A114: 0B0100FA FF0000F8
	v_mul_f32_dpp v129, v248, v129 quad_perm:[1,1,1,1] row_mask:0xf bank_mask:0xf// 00000000A11C: 0B0302FA FF0055F8
	v_mul_f32_dpp v130, v248, v130 quad_perm:[2,2,2,2] row_mask:0xf bank_mask:0xf// 00000000A124: 0B0504FA FF00AAF8
	v_mul_f32_dpp v131, v248, v131 quad_perm:[3,3,3,3] row_mask:0xf bank_mask:0xf// 00000000A12C: 0B0706FA FF00FFF8
	v_mul_f32_dpp v132, v249, v132 quad_perm:[0,0,0,0] row_mask:0xf bank_mask:0xf// 00000000A134: 0B0908FA FF0000F9
	v_mul_f32_dpp v133, v249, v133 quad_perm:[1,1,1,1] row_mask:0xf bank_mask:0xf// 00000000A13C: 0B0B0AFA FF0055F9
	v_mul_f32_dpp v134, v249, v134 quad_perm:[2,2,2,2] row_mask:0xf bank_mask:0xf// 00000000A144: 0B0D0CFA FF00AAF9
	v_mul_f32_dpp v135, v249, v135 quad_perm:[3,3,3,3] row_mask:0xf bank_mask:0xf// 00000000A14C: 0B0F0EFA FF00FFF9
	v_mul_f32_dpp v136, v250, v136 quad_perm:[0,0,0,0] row_mask:0xf bank_mask:0xf// 00000000A154: 0B1110FA FF0000FA
	v_mul_f32_dpp v137, v250, v137 quad_perm:[1,1,1,1] row_mask:0xf bank_mask:0xf// 00000000A15C: 0B1312FA FF0055FA
	v_mul_f32_dpp v138, v250, v138 quad_perm:[2,2,2,2] row_mask:0xf bank_mask:0xf// 00000000A164: 0B1514FA FF00AAFA
	v_mul_f32_dpp v139, v250, v139 quad_perm:[3,3,3,3] row_mask:0xf bank_mask:0xf// 00000000A16C: 0B1716FA FF00FFFA
	v_mul_f32_dpp v140, v251, v140 quad_perm:[0,0,0,0] row_mask:0xf bank_mask:0xf// 00000000A174: 0B1918FA FF0000FB
	v_mul_f32_dpp v141, v251, v141 quad_perm:[1,1,1,1] row_mask:0xf bank_mask:0xf// 00000000A17C: 0B1B1AFA FF0055FB
	v_mul_f32_dpp v142, v251, v142 quad_perm:[2,2,2,2] row_mask:0xf bank_mask:0xf// 00000000A184: 0B1D1CFA FF00AAFB
	v_mul_f32_dpp v143, v251, v143 quad_perm:[3,3,3,3] row_mask:0xf bank_mask:0xf// 00000000A18C: 0B1F1EFA FF00FFFB
	s_cmp_le_i32 s90, s89                                      // 00000000A194: BF05595A
	s_cbranch_scc1 label_2058                                  // 00000000A198: BF850071
	v_mov_b32_e32 v66, 0xff800000                              // 00000000A19C: 7E8402FF FF800000
	s_mov_b32 s60, s90                                         // 00000000A1A4: BEBC005A
	s_add_u32 s61, s89, 0xff                                   // 00000000A1A8: 803DFF59 000000FF
	v_mov_b32_e32 v64, s61                                     // 00000000A1B0: 7E80023D
	v_lshrrev_b32_e32 v240, 4, v0                              // 00000000A1B4: 21E00084
	v_mul_i32_i24_e32 v240, 4, v240                            // 00000000A1B8: 0DE1E084
	v_add_u32_e32 v240, s60, v240                              // 00000000A1BC: 69E1E03C
	s_mov_b32 s61, 1                                           // 00000000A1C0: BEBD0081
	s_mul_i32 s60, 16, s7                                      // 00000000A1C4: 923C0790
	v_sub_u32_e64 v240, v240, s61                              // 00000000A1C8: D13500F0 00007BF0
	v_add_u32_e32 v240, s60, v240                              // 00000000A1D0: 69E1E03C
	v_add_u32_e32 v241, 1, v240                                // 00000000A1D4: 69E3E081
	v_add_u32_e32 v242, 2, v240                                // 00000000A1D8: 69E5E082
	v_add_u32_e32 v243, 3, v240                                // 00000000A1DC: 69E7E083
	v_cmp_le_u32_e64 s[40:41], v240, v64                       // 00000000A1E0: D0CB0028 000281F0
	v_add_u32_e32 v240, 64, v240                               // 00000000A1E8: 69E1E0C0
	s_nop 0                                                    // 00000000A1EC: BF800000
	v_cndmask_b32_e64 v128, v66, v128, s[40:41]                // 00000000A1F0: D1000080 00A30142
	v_cmp_le_u32_e64 s[40:41], v241, v64                       // 00000000A1F8: D0CB0028 000281F1
	v_add_u32_e32 v241, 64, v241                               // 00000000A200: 69E3E2C0
	s_nop 0                                                    // 00000000A204: BF800000
	v_cndmask_b32_e64 v129, v66, v129, s[40:41]                // 00000000A208: D1000081 00A30342
	v_cmp_le_u32_e64 s[40:41], v242, v64                       // 00000000A210: D0CB0028 000281F2
	v_add_u32_e32 v242, 64, v242                               // 00000000A218: 69E5E4C0
	s_nop 0                                                    // 00000000A21C: BF800000
	v_cndmask_b32_e64 v130, v66, v130, s[40:41]                // 00000000A220: D1000082 00A30542
	v_cmp_le_u32_e64 s[40:41], v243, v64                       // 00000000A228: D0CB0028 000281F3
	v_add_u32_e32 v243, 64, v243                               // 00000000A230: 69E7E6C0
	s_nop 0                                                    // 00000000A234: BF800000
	v_cndmask_b32_e64 v131, v66, v131, s[40:41]                // 00000000A238: D1000083 00A30742
	v_cmp_le_u32_e64 s[40:41], v240, v64                       // 00000000A240: D0CB0028 000281F0
	v_add_u32_e32 v240, 64, v240                               // 00000000A248: 69E1E0C0
	s_nop 0                                                    // 00000000A24C: BF800000
	v_cndmask_b32_e64 v132, v66, v132, s[40:41]                // 00000000A250: D1000084 00A30942
	v_cmp_le_u32_e64 s[40:41], v241, v64                       // 00000000A258: D0CB0028 000281F1
	v_add_u32_e32 v241, 64, v241                               // 00000000A260: 69E3E2C0
	s_nop 0                                                    // 00000000A264: BF800000
	v_cndmask_b32_e64 v133, v66, v133, s[40:41]                // 00000000A268: D1000085 00A30B42
	v_cmp_le_u32_e64 s[40:41], v242, v64                       // 00000000A270: D0CB0028 000281F2
	v_add_u32_e32 v242, 64, v242                               // 00000000A278: 69E5E4C0
	s_nop 0                                                    // 00000000A27C: BF800000
	v_cndmask_b32_e64 v134, v66, v134, s[40:41]                // 00000000A280: D1000086 00A30D42
	v_cmp_le_u32_e64 s[40:41], v243, v64                       // 00000000A288: D0CB0028 000281F3
	v_add_u32_e32 v243, 64, v243                               // 00000000A290: 69E7E6C0
	s_nop 0                                                    // 00000000A294: BF800000
	v_cndmask_b32_e64 v135, v66, v135, s[40:41]                // 00000000A298: D1000087 00A30F42
	v_cmp_le_u32_e64 s[40:41], v240, v64                       // 00000000A2A0: D0CB0028 000281F0
	v_add_u32_e32 v240, 64, v240                               // 00000000A2A8: 69E1E0C0
	s_nop 0                                                    // 00000000A2AC: BF800000
	v_cndmask_b32_e64 v136, v66, v136, s[40:41]                // 00000000A2B0: D1000088 00A31142
	v_cmp_le_u32_e64 s[40:41], v241, v64                       // 00000000A2B8: D0CB0028 000281F1
	v_add_u32_e32 v241, 64, v241                               // 00000000A2C0: 69E3E2C0
	s_nop 0                                                    // 00000000A2C4: BF800000
	v_cndmask_b32_e64 v137, v66, v137, s[40:41]                // 00000000A2C8: D1000089 00A31342
	v_cmp_le_u32_e64 s[40:41], v242, v64                       // 00000000A2D0: D0CB0028 000281F2
	v_add_u32_e32 v242, 64, v242                               // 00000000A2D8: 69E5E4C0
	s_nop 0                                                    // 00000000A2DC: BF800000
	v_cndmask_b32_e64 v138, v66, v138, s[40:41]                // 00000000A2E0: D100008A 00A31542
	v_cmp_le_u32_e64 s[40:41], v243, v64                       // 00000000A2E8: D0CB0028 000281F3
	v_add_u32_e32 v243, 64, v243                               // 00000000A2F0: 69E7E6C0
	s_nop 0                                                    // 00000000A2F4: BF800000
	v_cndmask_b32_e64 v139, v66, v139, s[40:41]                // 00000000A2F8: D100008B 00A31742
	v_cmp_le_u32_e64 s[40:41], v240, v64                       // 00000000A300: D0CB0028 000281F0
	v_add_u32_e32 v240, 64, v240                               // 00000000A308: 69E1E0C0
	s_nop 0                                                    // 00000000A30C: BF800000
	v_cndmask_b32_e64 v140, v66, v140, s[40:41]                // 00000000A310: D100008C 00A31942
	v_cmp_le_u32_e64 s[40:41], v241, v64                       // 00000000A318: D0CB0028 000281F1
	v_add_u32_e32 v241, 64, v241                               // 00000000A320: 69E3E2C0
	s_nop 0                                                    // 00000000A324: BF800000
	v_cndmask_b32_e64 v141, v66, v141, s[40:41]                // 00000000A328: D100008D 00A31B42
	v_cmp_le_u32_e64 s[40:41], v242, v64                       // 00000000A330: D0CB0028 000281F2
	v_add_u32_e32 v242, 64, v242                               // 00000000A338: 69E5E4C0
	s_nop 0                                                    // 00000000A33C: BF800000
	v_cndmask_b32_e64 v142, v66, v142, s[40:41]                // 00000000A340: D100008E 00A31D42
	v_cmp_le_u32_e64 s[40:41], v243, v64                       // 00000000A348: D0CB0028 000281F3
	v_add_u32_e32 v243, 64, v243                               // 00000000A350: 69E7E6C0
	s_nop 0                                                    // 00000000A354: BF800000
	v_cndmask_b32_e64 v143, v66, v143, s[40:41]                // 00000000A358: D100008F 00A31F42

000000000000a360 <label_2058>:
	s_add_u32 s90, s91, s90                                    // 00000000A360: 805A5A5B
	v_mov_b32_e32 v48, v128                                    // 00000000A364: 7E600380
	v_max3_f32 v48, v128, v129, v48                            // 00000000A368: D1D30030 04C30380
	v_max3_f32 v48, v130, v131, v48                            // 00000000A370: D1D30030 04C30782
	v_max3_f32 v48, v132, v133, v48                            // 00000000A378: D1D30030 04C30B84
	v_max3_f32 v48, v134, v135, v48                            // 00000000A380: D1D30030 04C30F86
	v_max3_f32 v48, v136, v137, v48                            // 00000000A388: D1D30030 04C31388
	v_max3_f32 v48, v138, v139, v48                            // 00000000A390: D1D30030 04C3178A
	v_max3_f32 v48, v140, v141, v48                            // 00000000A398: D1D30030 04C31B8C
	v_max3_f32 v48, v142, v143, v48                            // 00000000A3A0: D1D30030 04C31F8E
	ds_write_b32 v8, v48 offset:16896                          // 00000000A3A8: D81A4200 00003008
	v_mul_f32_e32 v216, v50, v216                              // 00000000A3B0: 0BB1B132
	v_mul_f32_e32 v217, v50, v217                              // 00000000A3B4: 0BB3B332
	v_mul_f32_e32 v218, v50, v218                              // 00000000A3B8: 0BB5B532
	v_mul_f32_e32 v219, v50, v219                              // 00000000A3BC: 0BB7B732
	v_mul_f32_e32 v220, v50, v220                              // 00000000A3C0: 0BB9B932
	v_mul_f32_e32 v221, v50, v221                              // 00000000A3C4: 0BBBBB32
	v_mul_f32_e32 v222, v50, v222                              // 00000000A3C8: 0BBDBD32
	v_mul_f32_e32 v223, v50, v223                              // 00000000A3CC: 0BBFBF32
	s_waitcnt lgkmcnt(0)                                       // 00000000A3D0: BF8CC07F
	s_barrier                                                  // 00000000A3D4: BF8A0000
	ds_read_b32 v64, v7 offset:16896                           // 00000000A3D8: D86C4200 40000007
	ds_read_b32 v65, v7 offset:16960                           // 00000000A3E0: D86C4240 41000007
	ds_read_b32 v66, v7 offset:17024                           // 00000000A3E8: D86C4280 42000007
	ds_read_b32 v67, v7 offset:17088                           // 00000000A3F0: D86C42C0 43000007
	ds_read_b32 v68, v7 offset:17152                           // 00000000A3F8: D86C4300 44000007
	ds_read_b32 v69, v7 offset:17216                           // 00000000A400: D86C4340 45000007
	ds_read_b32 v70, v7 offset:17280                           // 00000000A408: D86C4380 46000007
	ds_read_b32 v71, v7 offset:17344                           // 00000000A410: D86C43C0 47000007
	ds_read_b32 v72, v7 offset:17408                           // 00000000A418: D86C4400 48000007
	ds_read_b32 v73, v7 offset:17472                           // 00000000A420: D86C4440 49000007
	ds_read_b32 v74, v7 offset:17536                           // 00000000A428: D86C4480 4A000007
	ds_read_b32 v75, v7 offset:17600                           // 00000000A430: D86C44C0 4B000007
	ds_read_b32 v76, v7 offset:17664                           // 00000000A438: D86C4500 4C000007
	ds_read_b32 v77, v7 offset:17728                           // 00000000A440: D86C4540 4D000007
	ds_read_b32 v78, v7 offset:17792                           // 00000000A448: D86C4580 4E000007
	ds_read_b32 v79, v7 offset:17856                           // 00000000A450: D86C45C0 4F000007
	v_cvt_f32_i32_e32 v184, v184                               // 00000000A458: 7F700BB8
	v_cvt_f32_i32_e32 v185, v185                               // 00000000A45C: 7F720BB9
	v_cvt_f32_i32_e32 v186, v186                               // 00000000A460: 7F740BBA
	v_cvt_f32_i32_e32 v187, v187                               // 00000000A464: 7F760BBB
	v_cvt_f32_i32_e32 v188, v188                               // 00000000A468: 7F780BBC
	v_cvt_f32_i32_e32 v189, v189                               // 00000000A46C: 7F7A0BBD
	v_cvt_f32_i32_e32 v190, v190                               // 00000000A470: 7F7C0BBE
	v_cvt_f32_i32_e32 v191, v191                               // 00000000A474: 7F7E0BBF
	v_mul_f32_e32 v184, v45, v184                              // 00000000A478: 0B71712D
	v_mul_f32_e32 v185, v45, v185                              // 00000000A47C: 0B73732D
	v_mul_f32_e32 v186, v45, v186                              // 00000000A480: 0B75752D
	v_mul_f32_e32 v187, v45, v187                              // 00000000A484: 0B77772D
	v_mul_f32_e32 v188, v45, v188                              // 00000000A488: 0B79792D
	v_mul_f32_e32 v189, v45, v189                              // 00000000A48C: 0B7B7B2D
	v_mul_f32_e32 v190, v45, v190                              // 00000000A490: 0B7D7D2D
	v_mul_f32_e32 v191, v45, v191                              // 00000000A494: 0B7F7F2D
	s_waitcnt lgkmcnt(0)                                       // 00000000A498: BF8CC07F
	v_max3_f32 v48, v64, v65, v48                              // 00000000A49C: D1D30030 04C28340
	v_max3_f32 v48, v66, v67, v48                              // 00000000A4A4: D1D30030 04C28742
	v_max3_f32 v48, v68, v69, v48                              // 00000000A4AC: D1D30030 04C28B44
	v_max3_f32 v48, v70, v71, v48                              // 00000000A4B4: D1D30030 04C28F46
	v_max3_f32 v48, v72, v73, v48                              // 00000000A4BC: D1D30030 04C29348
	v_max3_f32 v48, v74, v75, v48                              // 00000000A4C4: D1D30030 04C2974A
	v_max3_f32 v48, v76, v77, v48                              // 00000000A4CC: D1D30030 04C29B4C
	v_max3_f32 v48, v78, v79, v48                              // 00000000A4D4: D1D30030 04C29F4E
	v_mov_b32_e32 v64, 0xff800000                              // 00000000A4DC: 7E8002FF FF800000
	v_cmp_eq_u32_e64 s[40:41], v64, v12                        // 00000000A4E4: D0CA0028 00021940
	s_nop 1                                                    // 00000000A4EC: BF800001
	v_max_f32_e32 v15, v48, v12                                // 00000000A4F0: 161E1930
	v_mul_f32_e32 v53, s64, v15                                // 00000000A4F4: 0A6A1E40
	v_fma_f32 v128, v128, s64, -v53                            // 00000000A4F8: D1CB0080 84D48180
	v_fma_f32 v129, v129, s64, -v53                            // 00000000A500: D1CB0081 84D48181
	v_fma_f32 v130, v130, s64, -v53                            // 00000000A508: D1CB0082 84D48182
	v_fma_f32 v131, v131, s64, -v53                            // 00000000A510: D1CB0083 84D48183
	v_fma_f32 v132, v132, s64, -v53                            // 00000000A518: D1CB0084 84D48184
	v_fma_f32 v133, v133, s64, -v53                            // 00000000A520: D1CB0085 84D48185
	v_fma_f32 v134, v134, s64, -v53                            // 00000000A528: D1CB0086 84D48186
	v_fma_f32 v135, v135, s64, -v53                            // 00000000A530: D1CB0087 84D48187
	v_fma_f32 v136, v136, s64, -v53                            // 00000000A538: D1CB0088 84D48188
	v_fma_f32 v137, v137, s64, -v53                            // 00000000A540: D1CB0089 84D48189
	v_fma_f32 v138, v138, s64, -v53                            // 00000000A548: D1CB008A 84D4818A
	v_fma_f32 v139, v139, s64, -v53                            // 00000000A550: D1CB008B 84D4818B
	v_fma_f32 v140, v140, s64, -v53                            // 00000000A558: D1CB008C 84D4818C
	v_fma_f32 v141, v141, s64, -v53                            // 00000000A560: D1CB008D 84D4818D
	v_fma_f32 v142, v142, s64, -v53                            // 00000000A568: D1CB008E 84D4818E
	v_fma_f32 v143, v143, s64, -v53                            // 00000000A570: D1CB008F 84D4818F
	v_exp_f32_e32 v128, v128                                   // 00000000A578: 7F004180
	v_exp_f32_e32 v129, v129                                   // 00000000A57C: 7F024181
	v_exp_f32_e32 v130, v130                                   // 00000000A580: 7F044182
	v_exp_f32_e32 v131, v131                                   // 00000000A584: 7F064183
	v_exp_f32_e32 v132, v132                                   // 00000000A588: 7F084184
	v_exp_f32_e32 v133, v133                                   // 00000000A58C: 7F0A4185
	v_exp_f32_e32 v134, v134                                   // 00000000A590: 7F0C4186
	v_exp_f32_e32 v135, v135                                   // 00000000A594: 7F0E4187
	v_exp_f32_e32 v136, v136                                   // 00000000A598: 7F104188
	v_exp_f32_e32 v137, v137                                   // 00000000A59C: 7F124189
	v_exp_f32_e32 v138, v138                                   // 00000000A5A0: 7F14418A
	v_exp_f32_e32 v139, v139                                   // 00000000A5A4: 7F16418B
	v_exp_f32_e32 v140, v140                                   // 00000000A5A8: 7F18418C
	v_exp_f32_e32 v141, v141                                   // 00000000A5AC: 7F1A418D
	v_exp_f32_e32 v142, v142                                   // 00000000A5B0: 7F1C418E
	v_exp_f32_e32 v143, v143                                   // 00000000A5B4: 7F1E418F
	v_mul_f32_dpp v240, v252, v128 quad_perm:[0,0,0,0] row_mask:0xf bank_mask:0xf// 00000000A5B8: 0BE100FA FF0000FC
	v_mul_f32_dpp v241, v252, v129 quad_perm:[1,1,1,1] row_mask:0xf bank_mask:0xf// 00000000A5C0: 0BE302FA FF0055FC
	v_mul_f32_dpp v242, v252, v130 quad_perm:[2,2,2,2] row_mask:0xf bank_mask:0xf// 00000000A5C8: 0BE504FA FF00AAFC
	v_mul_f32_dpp v243, v252, v131 quad_perm:[3,3,3,3] row_mask:0xf bank_mask:0xf// 00000000A5D0: 0BE706FA FF00FFFC
	v_mul_f32_dpp v244, v253, v132 quad_perm:[0,0,0,0] row_mask:0xf bank_mask:0xf// 00000000A5D8: 0BE908FA FF0000FD
	v_mul_f32_dpp v245, v253, v133 quad_perm:[1,1,1,1] row_mask:0xf bank_mask:0xf// 00000000A5E0: 0BEB0AFA FF0055FD
	v_mul_f32_dpp v246, v253, v134 quad_perm:[2,2,2,2] row_mask:0xf bank_mask:0xf// 00000000A5E8: 0BED0CFA FF00AAFD
	v_mul_f32_dpp v247, v253, v135 quad_perm:[3,3,3,3] row_mask:0xf bank_mask:0xf// 00000000A5F0: 0BEF0EFA FF00FFFD
	v_mul_f32_dpp v248, v254, v136 quad_perm:[0,0,0,0] row_mask:0xf bank_mask:0xf// 00000000A5F8: 0BF110FA FF0000FE
	v_mul_f32_dpp v249, v254, v137 quad_perm:[1,1,1,1] row_mask:0xf bank_mask:0xf// 00000000A600: 0BF312FA FF0055FE
	v_mul_f32_dpp v250, v254, v138 quad_perm:[2,2,2,2] row_mask:0xf bank_mask:0xf// 00000000A608: 0BF514FA FF00AAFE
	v_mul_f32_dpp v251, v254, v139 quad_perm:[3,3,3,3] row_mask:0xf bank_mask:0xf// 00000000A610: 0BF716FA FF00FFFE
	v_mul_f32_dpp v252, v255, v140 quad_perm:[0,0,0,0] row_mask:0xf bank_mask:0xf// 00000000A618: 0BF918FA FF0000FF
	v_mul_f32_dpp v253, v255, v141 quad_perm:[1,1,1,1] row_mask:0xf bank_mask:0xf// 00000000A620: 0BFB1AFA FF0055FF
	v_mul_f32_dpp v254, v255, v142 quad_perm:[2,2,2,2] row_mask:0xf bank_mask:0xf// 00000000A628: 0BFD1CFA FF00AAFF
	v_mul_f32_dpp v255, v255, v143 quad_perm:[3,3,3,3] row_mask:0xf bank_mask:0xf// 00000000A630: 0BFF1EFA FF00FFFF
	v_mov_b32_e32 v48, 0x358637bd                              // 00000000A638: 7E6002FF 358637BD
	v_max3_f32 v48, |v240|, |v241|, v48                        // 00000000A640: D1D30330 04C3E3F0
	v_max3_f32 v48, |v242|, |v243|, v48                        // 00000000A648: D1D30330 04C3E7F2
	v_max3_f32 v48, |v244|, |v245|, v48                        // 00000000A650: D1D30330 04C3EBF4
	v_max3_f32 v48, |v246|, |v247|, v48                        // 00000000A658: D1D30330 04C3EFF6
	v_max3_f32 v48, |v248|, |v249|, v48                        // 00000000A660: D1D30330 04C3F3F8
	v_max3_f32 v48, |v250|, |v251|, v48                        // 00000000A668: D1D30330 04C3F7FA
	v_max3_f32 v48, |v252|, |v253|, v48                        // 00000000A670: D1D30330 04C3FBFC
	v_max3_f32 v48, |v254|, |v255|, v48                        // 00000000A678: D1D30330 04C3FFFE
	ds_write_b32 v8, v48 offset:20992                          // 00000000A680: D81A5200 00003008
	v_sub_f32_e32 v50, v12, v15                                // 00000000A688: 04641F0C
	v_cndmask_b32_e64 v50, v50, 0, s[40:41]                    // 00000000A68C: D1000032 00A10132
	v_mov_b32_e32 v12, v15                                     // 00000000A694: 7E18030F
	v_mul_f32_e32 v50, s64, v50                                // 00000000A698: 0A646440
	v_exp_f32_e32 v50, v50                                     // 00000000A69C: 7E644132
	s_waitcnt lgkmcnt(0)                                       // 00000000A6A0: BF8CC07F
	s_barrier                                                  // 00000000A6A4: BF8A0000
	ds_read_b32 v64, v7 offset:20992                           // 00000000A6A8: D86C5200 40000007
	ds_read_b32 v65, v7 offset:21056                           // 00000000A6B0: D86C5240 41000007
	ds_read_b32 v66, v7 offset:21120                           // 00000000A6B8: D86C5280 42000007
	ds_read_b32 v67, v7 offset:21184                           // 00000000A6C0: D86C52C0 43000007
	ds_read_b32 v68, v7 offset:21248                           // 00000000A6C8: D86C5300 44000007
	ds_read_b32 v69, v7 offset:21312                           // 00000000A6D0: D86C5340 45000007
	ds_read_b32 v70, v7 offset:21376                           // 00000000A6D8: D86C5380 46000007
	ds_read_b32 v71, v7 offset:21440                           // 00000000A6E0: D86C53C0 47000007
	ds_read_b32 v72, v7 offset:21504                           // 00000000A6E8: D86C5400 48000007
	ds_read_b32 v73, v7 offset:21568                           // 00000000A6F0: D86C5440 49000007
	ds_read_b32 v74, v7 offset:21632                           // 00000000A6F8: D86C5480 4A000007
	ds_read_b32 v75, v7 offset:21696                           // 00000000A700: D86C54C0 4B000007
	ds_read_b32 v76, v7 offset:21760                           // 00000000A708: D86C5500 4C000007
	ds_read_b32 v77, v7 offset:21824                           // 00000000A710: D86C5540 4D000007
	ds_read_b32 v78, v7 offset:21888                           // 00000000A718: D86C5580 4E000007
	ds_read_b32 v79, v7 offset:21952                           // 00000000A720: D86C55C0 4F000007
	v_mul_f32_e32 v39, v50, v39                                // 00000000A728: 0A4E4F32
	v_mov_b32_e32 v15, v128                                    // 00000000A72C: 7E1E0380
	v_add_f32_e32 v15, v129, v15                               // 00000000A730: 021E1F81
	v_add_f32_e32 v15, v130, v15                               // 00000000A734: 021E1F82
	v_add_f32_e32 v15, v131, v15                               // 00000000A738: 021E1F83
	v_add_f32_e32 v15, v132, v15                               // 00000000A73C: 021E1F84
	v_add_f32_e32 v15, v133, v15                               // 00000000A740: 021E1F85
	v_add_f32_e32 v15, v134, v15                               // 00000000A744: 021E1F86
	v_add_f32_e32 v15, v135, v15                               // 00000000A748: 021E1F87
	v_add_f32_e32 v15, v136, v15                               // 00000000A74C: 021E1F88
	v_add_f32_e32 v15, v137, v15                               // 00000000A750: 021E1F89
	v_add_f32_e32 v15, v138, v15                               // 00000000A754: 021E1F8A
	v_add_f32_e32 v15, v139, v15                               // 00000000A758: 021E1F8B
	v_add_f32_e32 v15, v140, v15                               // 00000000A75C: 021E1F8C
	v_add_f32_e32 v15, v141, v15                               // 00000000A760: 021E1F8D
	v_add_f32_e32 v15, v142, v15                               // 00000000A764: 021E1F8E
	v_add_f32_e32 v15, v143, v15                               // 00000000A768: 021E1F8F
	v_add_f32_e32 v39, v15, v39                                // 00000000A76C: 024E4F0F
	s_waitcnt lgkmcnt(0)                                       // 00000000A770: BF8CC07F
	v_max3_f32 v48, |v64|, |v65|, v48                          // 00000000A774: D1D30330 04C28340
	v_max3_f32 v48, |v66|, |v67|, v48                          // 00000000A77C: D1D30330 04C28742
	v_max3_f32 v48, |v68|, |v69|, v48                          // 00000000A784: D1D30330 04C28B44
	v_max3_f32 v48, |v70|, |v71|, v48                          // 00000000A78C: D1D30330 04C28F46
	v_max3_f32 v48, |v72|, |v73|, v48                          // 00000000A794: D1D30330 04C29348
	v_max3_f32 v48, |v74|, |v75|, v48                          // 00000000A79C: D1D30330 04C2974A
	v_max3_f32 v48, |v76|, |v77|, v48                          // 00000000A7A4: D1D30330 04C29B4C
	v_max3_f32 v48, |v78|, |v79|, v48                          // 00000000A7AC: D1D30330 04C29F4E
	s_nop 2                                                    // 00000000A7B4: BF800002
	v_rcp_f32_e32 v48, v48                                     // 00000000A7B8: 7E604530
	s_nop 1                                                    // 00000000A7BC: BF800001
	v_mul_f32_e32 v48, 0x42fe0000, v48                         // 00000000A7C0: 0A6060FF 42FE0000
	v_mul_f32_e32 v128, v48, v240                              // 00000000A7C8: 0B01E130
	v_mul_f32_e32 v129, v48, v241                              // 00000000A7CC: 0B03E330
	v_mul_f32_e32 v130, v48, v242                              // 00000000A7D0: 0B05E530
	v_mul_f32_e32 v131, v48, v243                              // 00000000A7D4: 0B07E730
	v_mul_f32_e32 v132, v48, v244                              // 00000000A7D8: 0B09E930
	v_mul_f32_e32 v133, v48, v245                              // 00000000A7DC: 0B0BEB30
	v_mul_f32_e32 v134, v48, v246                              // 00000000A7E0: 0B0DED30
	v_mul_f32_e32 v135, v48, v247                              // 00000000A7E4: 0B0FEF30
	v_mul_f32_e32 v136, v48, v248                              // 00000000A7E8: 0B11F130
	v_mul_f32_e32 v137, v48, v249                              // 00000000A7EC: 0B13F330
	v_mul_f32_e32 v138, v48, v250                              // 00000000A7F0: 0B15F530
	v_mul_f32_e32 v139, v48, v251                              // 00000000A7F4: 0B17F730
	v_mul_f32_e32 v140, v48, v252                              // 00000000A7F8: 0B19F930
	v_mul_f32_e32 v141, v48, v253                              // 00000000A7FC: 0B1BFB30
	v_mul_f32_e32 v142, v48, v254                              // 00000000A800: 0B1DFD30
	v_mul_f32_e32 v143, v48, v255                              // 00000000A804: 0B1FFF30
	v_cvt_i32_f32_e32 v128, v128                               // 00000000A808: 7F001180
	v_cvt_i32_f32_e32 v129, v129                               // 00000000A80C: 7F021181
	v_cvt_i32_f32_e32 v130, v130                               // 00000000A810: 7F041182
	v_cvt_i32_f32_e32 v131, v131                               // 00000000A814: 7F061183
	v_cvt_i32_f32_e32 v132, v132                               // 00000000A818: 7F081184
	v_cvt_i32_f32_e32 v133, v133                               // 00000000A81C: 7F0A1185
	v_cvt_i32_f32_e32 v134, v134                               // 00000000A820: 7F0C1186
	v_cvt_i32_f32_e32 v135, v135                               // 00000000A824: 7F0E1187
	v_cvt_i32_f32_e32 v136, v136                               // 00000000A828: 7F101188
	v_cvt_i32_f32_e32 v137, v137                               // 00000000A82C: 7F121189
	v_cvt_i32_f32_e32 v138, v138                               // 00000000A830: 7F14118A
	v_cvt_i32_f32_e32 v139, v139                               // 00000000A834: 7F16118B
	v_cvt_i32_f32_e32 v140, v140                               // 00000000A838: 7F18118C
	v_cvt_i32_f32_e32 v141, v141                               // 00000000A83C: 7F1A118D
	v_cvt_i32_f32_e32 v142, v142                               // 00000000A840: 7F1C118E
	v_cvt_i32_f32_e32 v143, v143                               // 00000000A844: 7F1E118F
	v_perm_b32 v128, v129, v128, s53                           // 00000000A848: D1ED0080 00D70181
	v_perm_b32 v128, v130, v128, s54                           // 00000000A850: D1ED0080 00DB0182
	v_perm_b32 v128, v131, v128, s55                           // 00000000A858: D1ED0080 00DF0183
	v_perm_b32 v129, v133, v132, s53                           // 00000000A860: D1ED0081 00D70985
	v_perm_b32 v129, v134, v129, s54                           // 00000000A868: D1ED0081 00DB0386
	v_perm_b32 v129, v135, v129, s55                           // 00000000A870: D1ED0081 00DF0387
	v_perm_b32 v130, v137, v136, s53                           // 00000000A878: D1ED0082 00D71189
	v_perm_b32 v130, v138, v130, s54                           // 00000000A880: D1ED0082 00DB058A
	v_perm_b32 v130, v139, v130, s55                           // 00000000A888: D1ED0082 00DF058B
	v_perm_b32 v131, v141, v140, s53                           // 00000000A890: D1ED0083 00D7198D
	v_perm_b32 v131, v142, v131, s54                           // 00000000A898: D1ED0083 00DB078E
	v_perm_b32 v131, v143, v131, s55                           // 00000000A8A0: D1ED0083 00DF078F
	ds_write_b32 v10, v128 offset:29184                        // 00000000A8A8: D81A7200 0000800A
	ds_write_b32 v10, v129 offset:30208                        // 00000000A8B0: D81A7600 0000810A
	ds_write_b32 v10, v130 offset:31232                        // 00000000A8B8: D81A7A00 0000820A
	ds_write_b32 v10, v131 offset:32256                        // 00000000A8C0: D81A7E00 0000830A
	v_add_f32_e32 v216, v216, v184                             // 00000000A8C8: 03B171D8
	v_add_f32_e32 v217, v217, v185                             // 00000000A8CC: 03B373D9
	v_add_f32_e32 v218, v218, v186                             // 00000000A8D0: 03B575DA
	v_add_f32_e32 v219, v219, v187                             // 00000000A8D4: 03B777DB
	v_add_f32_e32 v220, v220, v188                             // 00000000A8D8: 03B979DC
	v_add_f32_e32 v221, v221, v189                             // 00000000A8DC: 03BB7BDD
	v_add_f32_e32 v222, v222, v190                             // 00000000A8E0: 03BD7DDE
	v_add_f32_e32 v223, v223, v191                             // 00000000A8E4: 03BF7FDF
	v_rcp_f32_e32 v45, v48                                     // 00000000A8E8: 7E5A4530
	s_waitcnt lgkmcnt(0)                                       // 00000000A8EC: BF8CC07F
	s_barrier                                                  // 00000000A8F0: BF8A0000
	ds_read_b64 v[128:129], v9 offset:29184                    // 00000000A8F4: D8EC7200 80000009
	ds_read_b64 v[130:131], v9 offset:29312                    // 00000000A8FC: D8EC7280 82000009
	ds_read_b64 v[132:133], v9 offset:30208                    // 00000000A904: D8EC7600 84000009
	ds_read_b64 v[134:135], v9 offset:30336                    // 00000000A90C: D8EC7680 86000009
	ds_read_b64 v[136:137], v9 offset:31232                    // 00000000A914: D8EC7A00 88000009
	ds_read_b64 v[138:139], v9 offset:31360                    // 00000000A91C: D8EC7A80 8A000009
	ds_read_b64 v[140:141], v9 offset:32256                    // 00000000A924: D8EC7E00 8C000009
	ds_read_b64 v[142:143], v9 offset:32384                    // 00000000A92C: D8EC7E80 8E000009
	s_waitcnt vmcnt(15)                                        // 00000000A934: BF8C0F7F
	v_mfma_i32_16x16x32_i8 v[176:179], a[96:97], v[112:113], 0 // 00000000A938: D3D700B0 0A02E160
	v_mfma_i32_16x16x32_i8 v[176:179], a[98:99], v[114:115], v[176:179]// 00000000A940: D3D700B0 0EC2E562
	buffer_load_dwordx4 a[80:83], v30, s[20:23], 0 offen offset:1024// 00000000A948: E05C1400 8085501E
	v_mfma_i32_16x16x32_i8 v[176:179], a[100:101], v[116:117], v[176:179]// 00000000A950: D3D700B0 0EC2E964
	v_mfma_i32_16x16x32_i8 v[176:179], a[102:103], v[118:119], v[176:179]// 00000000A958: D3D700B0 0EC2ED66
	v_mfma_i32_16x16x32_i8 v[176:179], a[104:105], v[120:121], v[176:179]// 00000000A960: D3D700B0 0EC2F168
	v_mfma_i32_16x16x32_i8 v[176:179], a[106:107], v[122:123], v[176:179]// 00000000A968: D3D700B0 0EC2F56A
	buffer_load_dwordx4 a[84:87], v31, s[20:23], 0 offen offset:1024// 00000000A970: E05C1400 8085541F
	v_mfma_i32_16x16x32_i8 v[176:179], a[108:109], v[124:125], v[176:179]// 00000000A978: D3D700B0 0EC2F96C
	v_mfma_i32_16x16x32_i8 v[176:179], a[110:111], v[126:127], v[176:179]// 00000000A980: D3D700B0 0EC2FD6E
	v_mfma_i32_16x16x32_i8 v[180:183], a[112:113], v[112:113], 0// 00000000A988: D3D700B4 0A02E170
	v_mfma_i32_16x16x32_i8 v[180:183], a[114:115], v[114:115], v[180:183]// 00000000A990: D3D700B4 0ED2E572
	buffer_load_dwordx4 a[88:91], v32, s[20:23], 0 offen offset:1024// 00000000A998: E05C1400 80855820
	v_mfma_i32_16x16x32_i8 v[180:183], a[116:117], v[116:117], v[180:183]// 00000000A9A0: D3D700B4 0ED2E974
	v_mfma_i32_16x16x32_i8 v[180:183], a[118:119], v[118:119], v[180:183]// 00000000A9A8: D3D700B4 0ED2ED76
	v_mfma_i32_16x16x32_i8 v[180:183], a[120:121], v[120:121], v[180:183]// 00000000A9B0: D3D700B4 0ED2F178
	v_mfma_i32_16x16x32_i8 v[180:183], a[122:123], v[122:123], v[180:183]// 00000000A9B8: D3D700B4 0ED2F57A
	buffer_load_dwordx4 a[92:95], v33, s[20:23], 0 offen offset:1024// 00000000A9C0: E05C1400 80855C21
	v_mfma_i32_16x16x32_i8 v[180:183], a[124:125], v[124:125], v[180:183]// 00000000A9C8: D3D700B4 0ED2F97C
	s_lshr_b32 s57, s70, 4                                     // 00000000A9D0: 8F398446
	s_add_u32 s57, 48, s57                                     // 00000000A9D4: 803939B0
	v_mfma_i32_16x16x32_i8 v[180:183], a[126:127], v[126:127], v[180:183]// 00000000A9D8: D3D700B4 0ED2FD7E
	s_cmp_ge_u32 s57, s73                                      // 00000000A9E0: BF094939
	s_cselect_b32 s56, 0, s56                                  // 00000000A9E4: 85383880
	v_mfma_i32_16x16x32_i8 v[184:187], a[96:97], v[128:129], 0 // 00000000A9E8: D3D700B8 0A030160
	v_mfma_i32_16x16x32_i8 v[184:187], a[98:99], v[130:131], v[184:187]// 00000000A9F0: D3D700B8 0EE30562
	v_mfma_i32_16x16x32_i8 v[184:187], a[100:101], v[132:133], v[184:187]// 00000000A9F8: D3D700B8 0EE30964
	v_mfma_i32_16x16x32_i8 v[184:187], a[102:103], v[134:135], v[184:187]// 00000000AA00: D3D700B8 0EE30D66
	v_mfma_i32_16x16x32_i8 v[184:187], a[104:105], v[136:137], v[184:187]// 00000000AA08: D3D700B8 0EE31168
	v_mfma_i32_16x16x32_i8 v[184:187], a[106:107], v[138:139], v[184:187]// 00000000AA10: D3D700B8 0EE3156A
	v_mfma_i32_16x16x32_i8 v[184:187], a[108:109], v[140:141], v[184:187]// 00000000AA18: D3D700B8 0EE3196C
	v_mfma_i32_16x16x32_i8 v[184:187], a[110:111], v[142:143], v[184:187]// 00000000AA20: D3D700B8 0EE31D6E
	v_mfma_i32_16x16x32_i8 v[188:191], a[112:113], v[128:129], 0// 00000000AA28: D3D700BC 0A030170
	v_mfma_i32_16x16x32_i8 v[188:191], a[114:115], v[130:131], v[188:191]// 00000000AA30: D3D700BC 0EF30572
	v_mfma_i32_16x16x32_i8 v[188:191], a[116:117], v[132:133], v[188:191]// 00000000AA38: D3D700BC 0EF30974
	v_mfma_i32_16x16x32_i8 v[188:191], a[118:119], v[134:135], v[188:191]// 00000000AA40: D3D700BC 0EF30D76
	v_mfma_i32_16x16x32_i8 v[188:191], a[120:121], v[136:137], v[188:191]// 00000000AA48: D3D700BC 0EF31178
	v_mfma_i32_16x16x32_i8 v[188:191], a[122:123], v[138:139], v[188:191]// 00000000AA50: D3D700BC 0EF3157A
	v_mfma_i32_16x16x32_i8 v[188:191], a[124:125], v[140:141], v[188:191]// 00000000AA58: D3D700BC 0EF3197C
	v_mfma_i32_16x16x32_i8 v[188:191], a[126:127], v[142:143], v[188:191]// 00000000AA60: D3D700BC 0EF31D7E
	v_add_u32_e32 v1, s56, v1                                  // 00000000AA68: 68020238
	s_addk_i32 s70, 0x100                                      // 00000000AA6C: B7460100
	s_cmp_lt_i32 s70, s71                                      // 00000000AA70: BF044746
	s_cbranch_scc0 label_221F                                  // 00000000AA74: BF840001
	s_branch label_1714                                        // 00000000AA78: BF82F4F5

000000000000aa7c <label_221F>:
	s_nop 0                                                    // 00000000AA7C: BF800000
	s_nop 0                                                    // 00000000AA80: BF800000
	s_branch label_2D2D                                        // 00000000AA84: BF820B0B

000000000000aa88 <label_2222>:
	s_waitcnt vmcnt(8) lgkmcnt(0)                              // 00000000AA88: BF8C0078
	v_mul_u32_u24_dpp v64, v17, v54 row_newbcast:0 row_mask:0xf bank_mask:0xf// 00000000AA8C: 10806CFA FF015011
	v_mul_u32_u24_dpp v65, v17, v54 row_newbcast:4 row_mask:0xf bank_mask:0xf// 00000000AA94: 10826CFA FF015411
	v_mul_u32_u24_dpp v66, v17, v54 row_newbcast:8 row_mask:0xf bank_mask:0xf// 00000000AA9C: 10846CFA FF015811
	v_mul_u32_u24_dpp v67, v17, v54 row_newbcast:12 row_mask:0xf bank_mask:0xf// 00000000AAA4: 10866CFA FF015C11
	v_add_u32_e32 v26, v64, v5                                 // 00000000AAAC: 68340B40
	v_add_u32_e32 v27, v65, v5                                 // 00000000AAB0: 68360B41
	v_add_u32_e32 v28, v66, v5                                 // 00000000AAB4: 68380B42
	v_add_u32_e32 v29, v67, v5                                 // 00000000AAB8: 683A0B43
	v_mul_u32_u24_dpp v64, v17, v63 quad_perm:[0,0,0,0] row_mask:0xf bank_mask:0xf// 00000000AABC: 10807EFA FF000011
	v_add_u32_e32 v3, v64, v59                                 // 00000000AAC4: 68067740
	v_mul_u32_u24_dpp v64, v17, v63 quad_perm:[0,0,0,0] row_mask:0xf bank_mask:0xf// 00000000AAC8: 10807EFA FF000011
	v_add_u32_e32 v56, v64, v60                                // 00000000AAD0: 68707940
	v_mfma_i32_16x16x32_i8 v[112:115], a[0:1], v[80:81], 0     // 00000000AAD4: D3D70070 0A02A100
	buffer_load_dwordx4 a[32:35], v26, s[16:19], 0 offen       // 00000000AADC: E05C1000 8084201A
	v_mfma_i32_16x16x32_i8 v[112:115], a[2:3], v[82:83], v[112:115]// 00000000AAE4: D3D70070 0DC2A502
	v_mfma_i32_16x16x32_i8 v[112:115], a[4:5], v[84:85], v[112:115]// 00000000AAEC: D3D70070 0DC2A904
	buffer_load_dword v16, v1, s[24:27], 0 offen               // 00000000AAF4: E0501000 80061001
	v_mfma_i32_16x16x32_i8 v[112:115], a[6:7], v[86:87], v[112:115]// 00000000AAFC: D3D70070 0DC2AD06
	v_mfma_i32_16x16x32_i8 v[116:119], a[8:9], v[80:81], 0     // 00000000AB04: D3D70074 0A02A108
	buffer_load_dwordx4 a[36:39], v26, s[16:19], 0 offen offset:1024// 00000000AB0C: E05C1400 8084241A
	v_mfma_i32_16x16x32_i8 v[116:119], a[10:11], v[82:83], v[116:119]// 00000000AB14: D3D70074 0DD2A50A
	v_mfma_i32_16x16x32_i8 v[116:119], a[12:13], v[84:85], v[116:119]// 00000000AB1C: D3D70074 0DD2A90C
	v_mfma_i32_16x16x32_i8 v[116:119], a[14:15], v[86:87], v[116:119]// 00000000AB24: D3D70074 0DD2AD0E
	v_mfma_i32_16x16x32_i8 v[120:123], a[16:17], v[80:81], 0   // 00000000AB2C: D3D70078 0A02A110
	buffer_load_dwordx4 a[40:43], v27, s[16:19], 0 offen       // 00000000AB34: E05C1000 8084281B
	v_mfma_i32_16x16x32_i8 v[120:123], a[18:19], v[82:83], v[120:123]// 00000000AB3C: D3D70078 0DE2A512
	v_mfma_i32_16x16x32_i8 v[120:123], a[20:21], v[84:85], v[120:123]// 00000000AB44: D3D70078 0DE2A914
	v_mfma_i32_16x16x32_i8 v[120:123], a[22:23], v[86:87], v[120:123]// 00000000AB4C: D3D70078 0DE2AD16
	v_mfma_i32_16x16x32_i8 v[124:127], a[24:25], v[80:81], 0   // 00000000AB54: D3D7007C 0A02A118
	buffer_load_dwordx4 a[44:47], v27, s[16:19], 0 offen offset:1024// 00000000AB5C: E05C1400 80842C1B
	v_mfma_i32_16x16x32_i8 v[124:127], a[26:27], v[82:83], v[124:127]// 00000000AB64: D3D7007C 0DF2A51A
	v_mfma_i32_16x16x32_i8 v[124:127], a[28:29], v[84:85], v[124:127]// 00000000AB6C: D3D7007C 0DF2A91C
	v_mfma_i32_16x16x32_i8 v[124:127], a[30:31], v[86:87], v[124:127]// 00000000AB74: D3D7007C 0DF2AD1E
	v_mfma_i32_16x16x32_i8 v[128:131], a[0:1], v[88:89], 0     // 00000000AB7C: D3D70080 0A02B100
	v_mfma_i32_16x16x32_i8 v[128:131], a[2:3], v[90:91], v[128:131]// 00000000AB84: D3D70080 0E02B502
	v_mfma_i32_16x16x32_i8 v[128:131], a[4:5], v[92:93], v[128:131]// 00000000AB8C: D3D70080 0E02B904
	v_mfma_i32_16x16x32_i8 v[128:131], a[6:7], v[94:95], v[128:131]// 00000000AB94: D3D70080 0E02BD06
	v_mfma_i32_16x16x32_i8 v[132:135], a[8:9], v[88:89], 0     // 00000000AB9C: D3D70084 0A02B108
	v_mfma_i32_16x16x32_i8 v[132:135], a[10:11], v[90:91], v[132:135]// 00000000ABA4: D3D70084 0E12B50A
	v_mfma_i32_16x16x32_i8 v[132:135], a[12:13], v[92:93], v[132:135]// 00000000ABAC: D3D70084 0E12B90C
	v_mfma_i32_16x16x32_i8 v[132:135], a[14:15], v[94:95], v[132:135]// 00000000ABB4: D3D70084 0E12BD0E
	v_mfma_i32_16x16x32_i8 v[136:139], a[16:17], v[88:89], 0   // 00000000ABBC: D3D70088 0A02B110
	v_mfma_i32_16x16x32_i8 v[136:139], a[18:19], v[90:91], v[136:139]// 00000000ABC4: D3D70088 0E22B512
	v_mfma_i32_16x16x32_i8 v[136:139], a[20:21], v[92:93], v[136:139]// 00000000ABCC: D3D70088 0E22B914
	v_mfma_i32_16x16x32_i8 v[136:139], a[22:23], v[94:95], v[136:139]// 00000000ABD4: D3D70088 0E22BD16
	v_mfma_i32_16x16x32_i8 v[140:143], a[24:25], v[88:89], 0   // 00000000ABDC: D3D7008C 0A02B118
	v_mfma_i32_16x16x32_i8 v[140:143], a[26:27], v[90:91], v[140:143]// 00000000ABE4: D3D7008C 0E32B51A
	v_mfma_i32_16x16x32_i8 v[140:143], a[28:29], v[92:93], v[140:143]// 00000000ABEC: D3D7008C 0E32B91C
	v_mfma_i32_16x16x32_i8 v[140:143], a[30:31], v[94:95], v[140:143]// 00000000ABF4: D3D7008C 0E32BD1E
	buffer_load_dword v43, v3, s[32:35], 0 offen               // 00000000ABFC: E0501000 80082B03
	v_mov_b32_dpp v64, v42 row_shr:4 row_mask:0xf bank_mask:0xf// 00000000AC04: 7E8002FA FF01142A
	v_mov_b32_dpp v65, v42 row_shl:4 row_mask:0xf bank_mask:0xf// 00000000AC0C: 7E8202FA FF01042A
	v_cndmask_b32_e64 v248, v42, v64, s[44:45]                 // 00000000AC14: D10000F8 00B2812A
	v_cndmask_b32_e64 v249, v65, v42, s[44:45]                 // 00000000AC1C: D10000F9 00B25541
	v_mov_b32_dpp v64, v248 row_shr:8 row_mask:0xf bank_mask:0xf// 00000000AC24: 7E8002FA FF0118F8
	v_mov_b32_dpp v65, v248 row_shl:8 row_mask:0xf bank_mask:0xf// 00000000AC2C: 7E8202FA FF0108F8
	v_mov_b32_dpp v66, v249 row_shr:8 row_mask:0xf bank_mask:0xf// 00000000AC34: 7E8402FA FF0118F9
	v_mov_b32_dpp v67, v249 row_shl:8 row_mask:0xf bank_mask:0xf// 00000000AC3C: 7E8602FA FF0108F9
	v_mov_b32_e32 v68, v248                                    // 00000000AC44: 7E8803F8
	v_mov_b32_e32 v69, v249                                    // 00000000AC48: 7E8A03F9
	v_cndmask_b32_e64 v248, v68, v64, s[42:43]                 // 00000000AC4C: D10000F8 00AA8144
	v_cndmask_b32_e64 v250, v68, v65, s[78:79]                 // 00000000AC54: D10000FA 013A8344
	v_cndmask_b32_e64 v249, v69, v66, s[42:43]                 // 00000000AC5C: D10000F9 00AA8545
	v_cndmask_b32_e64 v251, v69, v67, s[78:79]                 // 00000000AC64: D10000FB 013A8745
	v_mov_b32_dpp v64, v57 row_shr:4 row_mask:0xf bank_mask:0xf// 00000000AC6C: 7E8002FA FF011439
	v_mov_b32_dpp v65, v57 row_shl:4 row_mask:0xf bank_mask:0xf// 00000000AC74: 7E8202FA FF010439
	v_cndmask_b32_e64 v252, v57, v64, s[44:45]                 // 00000000AC7C: D10000FC 00B28139
	v_cndmask_b32_e64 v253, v65, v57, s[44:45]                 // 00000000AC84: D10000FD 00B27341
	v_mov_b32_dpp v64, v252 row_shr:8 row_mask:0xf bank_mask:0xf// 00000000AC8C: 7E8002FA FF0118FC
	v_mov_b32_dpp v65, v252 row_shl:8 row_mask:0xf bank_mask:0xf// 00000000AC94: 7E8202FA FF0108FC
	v_mov_b32_dpp v66, v253 row_shr:8 row_mask:0xf bank_mask:0xf// 00000000AC9C: 7E8402FA FF0118FD
	v_mov_b32_dpp v67, v253 row_shl:8 row_mask:0xf bank_mask:0xf// 00000000ACA4: 7E8602FA FF0108FD
	v_mov_b32_e32 v68, v252                                    // 00000000ACAC: 7E8803FC
	v_mov_b32_e32 v69, v253                                    // 00000000ACB0: 7E8A03FD
	v_cndmask_b32_e64 v252, v68, v64, s[42:43]                 // 00000000ACB4: D10000FC 00AA8144
	v_cndmask_b32_e64 v254, v68, v65, s[78:79]                 // 00000000ACBC: D10000FE 013A8344
	v_cndmask_b32_e64 v253, v69, v66, s[42:43]                 // 00000000ACC4: D10000FD 00AA8545
	v_cndmask_b32_e64 v255, v69, v67, s[78:79]                 // 00000000ACCC: D10000FF 013A8745
	buffer_load_dword v58, v56, s[36:39], 0 offen              // 00000000ACD4: E0501000 80093A38
	v_cvt_f32_i32_e32 v112, v112                               // 00000000ACDC: 7EE00B70
	v_cvt_f32_i32_e32 v113, v113                               // 00000000ACE0: 7EE20B71
	v_cvt_f32_i32_e32 v114, v114                               // 00000000ACE4: 7EE40B72
	v_cvt_f32_i32_e32 v115, v115                               // 00000000ACE8: 7EE60B73
	v_cvt_f32_i32_e32 v116, v116                               // 00000000ACEC: 7EE80B74
	v_cvt_f32_i32_e32 v117, v117                               // 00000000ACF0: 7EEA0B75
	v_cvt_f32_i32_e32 v118, v118                               // 00000000ACF4: 7EEC0B76
	v_cvt_f32_i32_e32 v119, v119                               // 00000000ACF8: 7EEE0B77
	v_cvt_f32_i32_e32 v120, v120                               // 00000000ACFC: 7EF00B78
	v_cvt_f32_i32_e32 v121, v121                               // 00000000AD00: 7EF20B79
	v_cvt_f32_i32_e32 v122, v122                               // 00000000AD04: 7EF40B7A
	v_cvt_f32_i32_e32 v123, v123                               // 00000000AD08: 7EF60B7B
	v_cvt_f32_i32_e32 v124, v124                               // 00000000AD0C: 7EF80B7C
	v_cvt_f32_i32_e32 v125, v125                               // 00000000AD10: 7EFA0B7D
	v_cvt_f32_i32_e32 v126, v126                               // 00000000AD14: 7EFC0B7E
	v_cvt_f32_i32_e32 v127, v127                               // 00000000AD18: 7EFE0B7F
	v_mul_f32_e32 v112, v18, v112                              // 00000000AD1C: 0AE0E112
	v_mul_f32_e32 v113, v18, v113                              // 00000000AD20: 0AE2E312
	v_mul_f32_e32 v114, v18, v114                              // 00000000AD24: 0AE4E512
	v_mul_f32_e32 v115, v18, v115                              // 00000000AD28: 0AE6E712
	v_mul_f32_e32 v116, v18, v116                              // 00000000AD2C: 0AE8E912
	v_mul_f32_e32 v117, v18, v117                              // 00000000AD30: 0AEAEB12
	v_mul_f32_e32 v118, v18, v118                              // 00000000AD34: 0AECED12
	v_mul_f32_e32 v119, v18, v119                              // 00000000AD38: 0AEEEF12
	v_mul_f32_e32 v120, v18, v120                              // 00000000AD3C: 0AF0F112
	v_mul_f32_e32 v121, v18, v121                              // 00000000AD40: 0AF2F312
	v_mul_f32_e32 v122, v18, v122                              // 00000000AD44: 0AF4F512
	v_mul_f32_e32 v123, v18, v123                              // 00000000AD48: 0AF6F712
	v_mul_f32_e32 v124, v18, v124                              // 00000000AD4C: 0AF8F912
	v_mul_f32_e32 v125, v18, v125                              // 00000000AD50: 0AFAFB12
	v_mul_f32_e32 v126, v18, v126                              // 00000000AD54: 0AFCFD12
	v_mul_f32_e32 v127, v18, v127                              // 00000000AD58: 0AFEFF12
	buffer_load_dwordx4 a[48:51], v28, s[16:19], 0 offen       // 00000000AD5C: E05C1000 8084301C
	v_mul_f32_dpp v112, v248, v112 quad_perm:[0,0,0,0] row_mask:0xf bank_mask:0xf// 00000000AD64: 0AE0E0FA FF0000F8
	v_mul_f32_dpp v113, v248, v113 quad_perm:[1,1,1,1] row_mask:0xf bank_mask:0xf// 00000000AD6C: 0AE2E2FA FF0055F8
	v_mul_f32_dpp v114, v248, v114 quad_perm:[2,2,2,2] row_mask:0xf bank_mask:0xf// 00000000AD74: 0AE4E4FA FF00AAF8
	v_mul_f32_dpp v115, v248, v115 quad_perm:[3,3,3,3] row_mask:0xf bank_mask:0xf// 00000000AD7C: 0AE6E6FA FF00FFF8
	v_mul_f32_dpp v116, v249, v116 quad_perm:[0,0,0,0] row_mask:0xf bank_mask:0xf// 00000000AD84: 0AE8E8FA FF0000F9
	v_mul_f32_dpp v117, v249, v117 quad_perm:[1,1,1,1] row_mask:0xf bank_mask:0xf// 00000000AD8C: 0AEAEAFA FF0055F9
	v_mul_f32_dpp v118, v249, v118 quad_perm:[2,2,2,2] row_mask:0xf bank_mask:0xf// 00000000AD94: 0AECECFA FF00AAF9
	v_mul_f32_dpp v119, v249, v119 quad_perm:[3,3,3,3] row_mask:0xf bank_mask:0xf// 00000000AD9C: 0AEEEEFA FF00FFF9
	v_mul_f32_dpp v120, v250, v120 quad_perm:[0,0,0,0] row_mask:0xf bank_mask:0xf// 00000000ADA4: 0AF0F0FA FF0000FA
	v_mul_f32_dpp v121, v250, v121 quad_perm:[1,1,1,1] row_mask:0xf bank_mask:0xf// 00000000ADAC: 0AF2F2FA FF0055FA
	v_mul_f32_dpp v122, v250, v122 quad_perm:[2,2,2,2] row_mask:0xf bank_mask:0xf// 00000000ADB4: 0AF4F4FA FF00AAFA
	v_mul_f32_dpp v123, v250, v123 quad_perm:[3,3,3,3] row_mask:0xf bank_mask:0xf// 00000000ADBC: 0AF6F6FA FF00FFFA
	v_mul_f32_dpp v124, v251, v124 quad_perm:[0,0,0,0] row_mask:0xf bank_mask:0xf// 00000000ADC4: 0AF8F8FA FF0000FB
	v_mul_f32_dpp v125, v251, v125 quad_perm:[1,1,1,1] row_mask:0xf bank_mask:0xf// 00000000ADCC: 0AFAFAFA FF0055FB
	v_mul_f32_dpp v126, v251, v126 quad_perm:[2,2,2,2] row_mask:0xf bank_mask:0xf// 00000000ADD4: 0AFCFCFA FF00AAFB
	v_mul_f32_dpp v127, v251, v127 quad_perm:[3,3,3,3] row_mask:0xf bank_mask:0xf// 00000000ADDC: 0AFEFEFA FF00FFFB
	buffer_load_dwordx4 a[52:55], v28, s[16:19], 0 offen offset:1024// 00000000ADE4: E05C1400 8084341C
	s_cmp_le_i32 s90, s89                                      // 00000000ADEC: BF05595A
	s_cbranch_scc1 label_236E                                  // 00000000ADF0: BF850071
	v_mov_b32_e32 v66, 0xff800000                              // 00000000ADF4: 7E8402FF FF800000
	s_mov_b32 s60, s90                                         // 00000000ADFC: BEBC005A
	s_add_u32 s61, s89, 0xff                                   // 00000000AE00: 803DFF59 000000FF
	v_mov_b32_e32 v64, s61                                     // 00000000AE08: 7E80023D
	v_lshrrev_b32_e32 v240, 4, v0                              // 00000000AE0C: 21E00084
	v_mul_i32_i24_e32 v240, 4, v240                            // 00000000AE10: 0DE1E084
	v_add_u32_e32 v240, s60, v240                              // 00000000AE14: 69E1E03C
	s_mov_b32 s61, 0                                           // 00000000AE18: BEBD0080
	s_mul_i32 s60, 16, s7                                      // 00000000AE1C: 923C0790
	v_sub_u32_e64 v240, v240, s61                              // 00000000AE20: D13500F0 00007BF0
	v_add_u32_e32 v240, s60, v240                              // 00000000AE28: 69E1E03C
	v_add_u32_e32 v241, 1, v240                                // 00000000AE2C: 69E3E081
	v_add_u32_e32 v242, 2, v240                                // 00000000AE30: 69E5E082
	v_add_u32_e32 v243, 3, v240                                // 00000000AE34: 69E7E083
	v_cmp_le_u32_e64 s[40:41], v240, v64                       // 00000000AE38: D0CB0028 000281F0
	v_add_u32_e32 v240, 64, v240                               // 00000000AE40: 69E1E0C0
	s_nop 0                                                    // 00000000AE44: BF800000
	v_cndmask_b32_e64 v112, v66, v112, s[40:41]                // 00000000AE48: D1000070 00A2E142
	v_cmp_le_u32_e64 s[40:41], v241, v64                       // 00000000AE50: D0CB0028 000281F1
	v_add_u32_e32 v241, 64, v241                               // 00000000AE58: 69E3E2C0
	s_nop 0                                                    // 00000000AE5C: BF800000
	v_cndmask_b32_e64 v113, v66, v113, s[40:41]                // 00000000AE60: D1000071 00A2E342
	v_cmp_le_u32_e64 s[40:41], v242, v64                       // 00000000AE68: D0CB0028 000281F2
	v_add_u32_e32 v242, 64, v242                               // 00000000AE70: 69E5E4C0
	s_nop 0                                                    // 00000000AE74: BF800000
	v_cndmask_b32_e64 v114, v66, v114, s[40:41]                // 00000000AE78: D1000072 00A2E542
	v_cmp_le_u32_e64 s[40:41], v243, v64                       // 00000000AE80: D0CB0028 000281F3
	v_add_u32_e32 v243, 64, v243                               // 00000000AE88: 69E7E6C0
	s_nop 0                                                    // 00000000AE8C: BF800000
	v_cndmask_b32_e64 v115, v66, v115, s[40:41]                // 00000000AE90: D1000073 00A2E742
	v_cmp_le_u32_e64 s[40:41], v240, v64                       // 00000000AE98: D0CB0028 000281F0
	v_add_u32_e32 v240, 64, v240                               // 00000000AEA0: 69E1E0C0
	s_nop 0                                                    // 00000000AEA4: BF800000
	v_cndmask_b32_e64 v116, v66, v116, s[40:41]                // 00000000AEA8: D1000074 00A2E942
	v_cmp_le_u32_e64 s[40:41], v241, v64                       // 00000000AEB0: D0CB0028 000281F1
	v_add_u32_e32 v241, 64, v241                               // 00000000AEB8: 69E3E2C0
	s_nop 0                                                    // 00000000AEBC: BF800000
	v_cndmask_b32_e64 v117, v66, v117, s[40:41]                // 00000000AEC0: D1000075 00A2EB42
	v_cmp_le_u32_e64 s[40:41], v242, v64                       // 00000000AEC8: D0CB0028 000281F2
	v_add_u32_e32 v242, 64, v242                               // 00000000AED0: 69E5E4C0
	s_nop 0                                                    // 00000000AED4: BF800000
	v_cndmask_b32_e64 v118, v66, v118, s[40:41]                // 00000000AED8: D1000076 00A2ED42
	v_cmp_le_u32_e64 s[40:41], v243, v64                       // 00000000AEE0: D0CB0028 000281F3
	v_add_u32_e32 v243, 64, v243                               // 00000000AEE8: 69E7E6C0
	s_nop 0                                                    // 00000000AEEC: BF800000
	v_cndmask_b32_e64 v119, v66, v119, s[40:41]                // 00000000AEF0: D1000077 00A2EF42
	v_cmp_le_u32_e64 s[40:41], v240, v64                       // 00000000AEF8: D0CB0028 000281F0
	v_add_u32_e32 v240, 64, v240                               // 00000000AF00: 69E1E0C0
	s_nop 0                                                    // 00000000AF04: BF800000
	v_cndmask_b32_e64 v120, v66, v120, s[40:41]                // 00000000AF08: D1000078 00A2F142
	v_cmp_le_u32_e64 s[40:41], v241, v64                       // 00000000AF10: D0CB0028 000281F1
	v_add_u32_e32 v241, 64, v241                               // 00000000AF18: 69E3E2C0
	s_nop 0                                                    // 00000000AF1C: BF800000
	v_cndmask_b32_e64 v121, v66, v121, s[40:41]                // 00000000AF20: D1000079 00A2F342
	v_cmp_le_u32_e64 s[40:41], v242, v64                       // 00000000AF28: D0CB0028 000281F2
	v_add_u32_e32 v242, 64, v242                               // 00000000AF30: 69E5E4C0
	s_nop 0                                                    // 00000000AF34: BF800000
	v_cndmask_b32_e64 v122, v66, v122, s[40:41]                // 00000000AF38: D100007A 00A2F542
	v_cmp_le_u32_e64 s[40:41], v243, v64                       // 00000000AF40: D0CB0028 000281F3
	v_add_u32_e32 v243, 64, v243                               // 00000000AF48: 69E7E6C0
	s_nop 0                                                    // 00000000AF4C: BF800000
	v_cndmask_b32_e64 v123, v66, v123, s[40:41]                // 00000000AF50: D100007B 00A2F742
	v_cmp_le_u32_e64 s[40:41], v240, v64                       // 00000000AF58: D0CB0028 000281F0
	v_add_u32_e32 v240, 64, v240                               // 00000000AF60: 69E1E0C0
	s_nop 0                                                    // 00000000AF64: BF800000
	v_cndmask_b32_e64 v124, v66, v124, s[40:41]                // 00000000AF68: D100007C 00A2F942
	v_cmp_le_u32_e64 s[40:41], v241, v64                       // 00000000AF70: D0CB0028 000281F1
	v_add_u32_e32 v241, 64, v241                               // 00000000AF78: 69E3E2C0
	s_nop 0                                                    // 00000000AF7C: BF800000
	v_cndmask_b32_e64 v125, v66, v125, s[40:41]                // 00000000AF80: D100007D 00A2FB42
	v_cmp_le_u32_e64 s[40:41], v242, v64                       // 00000000AF88: D0CB0028 000281F2
	v_add_u32_e32 v242, 64, v242                               // 00000000AF90: 69E5E4C0
	s_nop 0                                                    // 00000000AF94: BF800000
	v_cndmask_b32_e64 v126, v66, v126, s[40:41]                // 00000000AF98: D100007E 00A2FD42
	v_cmp_le_u32_e64 s[40:41], v243, v64                       // 00000000AFA0: D0CB0028 000281F3
	v_add_u32_e32 v243, 64, v243                               // 00000000AFA8: 69E7E6C0
	s_nop 0                                                    // 00000000AFAC: BF800000
	v_cndmask_b32_e64 v127, v66, v127, s[40:41]                // 00000000AFB0: D100007F 00A2FF42

000000000000afb8 <label_236E>:
	v_mov_b32_e32 v48, v112                                    // 00000000AFB8: 7E600370
	v_max3_f32 v48, v112, v113, v48                            // 00000000AFBC: D1D30030 04C2E370
	v_max3_f32 v48, v114, v115, v48                            // 00000000AFC4: D1D30030 04C2E772
	v_max3_f32 v48, v116, v117, v48                            // 00000000AFCC: D1D30030 04C2EB74
	v_max3_f32 v48, v118, v119, v48                            // 00000000AFD4: D1D30030 04C2EF76
	v_max3_f32 v48, v120, v121, v48                            // 00000000AFDC: D1D30030 04C2F378
	v_max3_f32 v48, v122, v123, v48                            // 00000000AFE4: D1D30030 04C2F77A
	v_max3_f32 v48, v124, v125, v48                            // 00000000AFEC: D1D30030 04C2FB7C
	v_max3_f32 v48, v126, v127, v48                            // 00000000AFF4: D1D30030 04C2FF7E
	ds_write_b32 v8, v48 offset:16896                          // 00000000AFFC: D81A4200 00003008
	buffer_load_dwordx4 a[56:59], v29, s[16:19], 0 offen       // 00000000B004: E05C1000 8084381D
	v_mul_u32_u24_dpp v64, v17, v54 row_newbcast:1 row_mask:0xf bank_mask:0xf// 00000000B00C: 10806CFA FF015111
	v_mul_u32_u24_dpp v65, v17, v54 row_newbcast:5 row_mask:0xf bank_mask:0xf// 00000000B014: 10826CFA FF015511
	v_mul_u32_u24_dpp v66, v17, v54 row_newbcast:9 row_mask:0xf bank_mask:0xf// 00000000B01C: 10846CFA FF015911
	v_mul_u32_u24_dpp v67, v17, v54 row_newbcast:13 row_mask:0xf bank_mask:0xf// 00000000B024: 10866CFA FF015D11
	v_add_u32_e32 v34, v64, v6                                 // 00000000B02C: 68440D40
	v_add_u32_e32 v35, v65, v6                                 // 00000000B030: 68460D41
	v_add_u32_e32 v36, v66, v6                                 // 00000000B034: 68480D42
	v_add_u32_e32 v37, v67, v6                                 // 00000000B038: 684A0D43
	v_mul_f32_e32 v208, v49, v208                              // 00000000B03C: 0BA1A131
	v_mul_f32_e32 v209, v49, v209                              // 00000000B040: 0BA3A331
	v_mul_f32_e32 v210, v49, v210                              // 00000000B044: 0BA5A531
	v_mul_f32_e32 v211, v49, v211                              // 00000000B048: 0BA7A731
	v_mul_f32_e32 v212, v49, v212                              // 00000000B04C: 0BA9A931
	v_mul_f32_e32 v213, v49, v213                              // 00000000B050: 0BABAB31
	v_mul_f32_e32 v214, v49, v214                              // 00000000B054: 0BADAD31
	v_mul_f32_e32 v215, v49, v215                              // 00000000B058: 0BAFAF31
	s_waitcnt lgkmcnt(0)                                       // 00000000B05C: BF8CC07F
	s_barrier                                                  // 00000000B060: BF8A0000
	ds_read_b32 v64, v7 offset:16896                           // 00000000B064: D86C4200 40000007
	ds_read_b32 v65, v7 offset:16960                           // 00000000B06C: D86C4240 41000007
	ds_read_b32 v66, v7 offset:17024                           // 00000000B074: D86C4280 42000007
	ds_read_b32 v67, v7 offset:17088                           // 00000000B07C: D86C42C0 43000007
	ds_read_b32 v68, v7 offset:17152                           // 00000000B084: D86C4300 44000007
	ds_read_b32 v69, v7 offset:17216                           // 00000000B08C: D86C4340 45000007
	ds_read_b32 v70, v7 offset:17280                           // 00000000B094: D86C4380 46000007
	ds_read_b32 v71, v7 offset:17344                           // 00000000B09C: D86C43C0 47000007
	ds_read_b32 v72, v7 offset:17408                           // 00000000B0A4: D86C4400 48000007
	ds_read_b32 v73, v7 offset:17472                           // 00000000B0AC: D86C4440 49000007
	ds_read_b32 v74, v7 offset:17536                           // 00000000B0B4: D86C4480 4A000007
	ds_read_b32 v75, v7 offset:17600                           // 00000000B0BC: D86C44C0 4B000007
	ds_read_b32 v76, v7 offset:17664                           // 00000000B0C4: D86C4500 4C000007
	ds_read_b32 v77, v7 offset:17728                           // 00000000B0CC: D86C4540 4D000007
	ds_read_b32 v78, v7 offset:17792                           // 00000000B0D4: D86C4580 4E000007
	ds_read_b32 v79, v7 offset:17856                           // 00000000B0DC: D86C45C0 4F000007
	buffer_load_dwordx4 a[60:63], v29, s[16:19], 0 offen offset:1024// 00000000B0E4: E05C1400 80843C1D
	v_cvt_f32_i32_e32 v176, v176                               // 00000000B0EC: 7F600BB0
	v_cvt_f32_i32_e32 v177, v177                               // 00000000B0F0: 7F620BB1
	v_cvt_f32_i32_e32 v178, v178                               // 00000000B0F4: 7F640BB2
	v_cvt_f32_i32_e32 v179, v179                               // 00000000B0F8: 7F660BB3
	v_cvt_f32_i32_e32 v180, v180                               // 00000000B0FC: 7F680BB4
	v_cvt_f32_i32_e32 v181, v181                               // 00000000B100: 7F6A0BB5
	v_cvt_f32_i32_e32 v182, v182                               // 00000000B104: 7F6C0BB6
	v_cvt_f32_i32_e32 v183, v183                               // 00000000B108: 7F6E0BB7
	v_mul_f32_e32 v176, v44, v176                              // 00000000B10C: 0B61612C
	v_mul_f32_e32 v177, v44, v177                              // 00000000B110: 0B63632C
	v_mul_f32_e32 v178, v44, v178                              // 00000000B114: 0B65652C
	v_mul_f32_e32 v179, v44, v179                              // 00000000B118: 0B67672C
	v_mul_f32_e32 v180, v44, v180                              // 00000000B11C: 0B69692C
	v_mul_f32_e32 v181, v44, v181                              // 00000000B120: 0B6B6B2C
	v_mul_f32_e32 v182, v44, v182                              // 00000000B124: 0B6D6D2C
	v_mul_f32_e32 v183, v44, v183                              // 00000000B128: 0B6F6F2C
	s_waitcnt lgkmcnt(0)                                       // 00000000B12C: BF8CC07F
	v_max3_f32 v48, v64, v65, v48                              // 00000000B130: D1D30030 04C28340
	v_max3_f32 v48, v66, v67, v48                              // 00000000B138: D1D30030 04C28742
	v_max3_f32 v48, v68, v69, v48                              // 00000000B140: D1D30030 04C28B44
	v_max3_f32 v48, v70, v71, v48                              // 00000000B148: D1D30030 04C28F46
	v_max3_f32 v48, v72, v73, v48                              // 00000000B150: D1D30030 04C29348
	v_max3_f32 v48, v74, v75, v48                              // 00000000B158: D1D30030 04C2974A
	v_max3_f32 v48, v76, v77, v48                              // 00000000B160: D1D30030 04C29B4C
	v_max3_f32 v48, v78, v79, v48                              // 00000000B168: D1D30030 04C29F4E
	buffer_load_dwordx4 a[96:99], v34, s[20:23], 0 offen       // 00000000B170: E05C1000 80856022
	v_mov_b32_e32 v64, 0xff800000                              // 00000000B178: 7E8002FF FF800000
	v_cmp_eq_u32_e64 s[40:41], v64, v11                        // 00000000B180: D0CA0028 00021740
	s_nop 1                                                    // 00000000B188: BF800001
	v_max_f32_e32 v15, v48, v11                                // 00000000B18C: 161E1730
	v_mul_f32_e32 v53, s64, v15                                // 00000000B190: 0A6A1E40
	v_fma_f32 v112, v112, s64, -v53                            // 00000000B194: D1CB0070 84D48170
	v_fma_f32 v113, v113, s64, -v53                            // 00000000B19C: D1CB0071 84D48171
	v_fma_f32 v114, v114, s64, -v53                            // 00000000B1A4: D1CB0072 84D48172
	v_fma_f32 v115, v115, s64, -v53                            // 00000000B1AC: D1CB0073 84D48173
	v_fma_f32 v116, v116, s64, -v53                            // 00000000B1B4: D1CB0074 84D48174
	v_fma_f32 v117, v117, s64, -v53                            // 00000000B1BC: D1CB0075 84D48175
	v_fma_f32 v118, v118, s64, -v53                            // 00000000B1C4: D1CB0076 84D48176
	v_fma_f32 v119, v119, s64, -v53                            // 00000000B1CC: D1CB0077 84D48177
	v_fma_f32 v120, v120, s64, -v53                            // 00000000B1D4: D1CB0078 84D48178
	v_fma_f32 v121, v121, s64, -v53                            // 00000000B1DC: D1CB0079 84D48179
	v_fma_f32 v122, v122, s64, -v53                            // 00000000B1E4: D1CB007A 84D4817A
	v_fma_f32 v123, v123, s64, -v53                            // 00000000B1EC: D1CB007B 84D4817B
	v_fma_f32 v124, v124, s64, -v53                            // 00000000B1F4: D1CB007C 84D4817C
	v_fma_f32 v125, v125, s64, -v53                            // 00000000B1FC: D1CB007D 84D4817D
	v_fma_f32 v126, v126, s64, -v53                            // 00000000B204: D1CB007E 84D4817E
	v_fma_f32 v127, v127, s64, -v53                            // 00000000B20C: D1CB007F 84D4817F
	buffer_load_dwordx4 a[100:103], v35, s[20:23], 0 offen     // 00000000B214: E05C1000 80856423
	v_exp_f32_e32 v112, v112                                   // 00000000B21C: 7EE04170
	v_exp_f32_e32 v113, v113                                   // 00000000B220: 7EE24171
	v_exp_f32_e32 v114, v114                                   // 00000000B224: 7EE44172
	v_exp_f32_e32 v115, v115                                   // 00000000B228: 7EE64173
	v_exp_f32_e32 v116, v116                                   // 00000000B22C: 7EE84174
	v_exp_f32_e32 v117, v117                                   // 00000000B230: 7EEA4175
	v_exp_f32_e32 v118, v118                                   // 00000000B234: 7EEC4176
	v_exp_f32_e32 v119, v119                                   // 00000000B238: 7EEE4177
	v_exp_f32_e32 v120, v120                                   // 00000000B23C: 7EF04178
	v_exp_f32_e32 v121, v121                                   // 00000000B240: 7EF24179
	v_exp_f32_e32 v122, v122                                   // 00000000B244: 7EF4417A
	v_exp_f32_e32 v123, v123                                   // 00000000B248: 7EF6417B
	v_exp_f32_e32 v124, v124                                   // 00000000B24C: 7EF8417C
	v_exp_f32_e32 v125, v125                                   // 00000000B250: 7EFA417D
	v_exp_f32_e32 v126, v126                                   // 00000000B254: 7EFC417E
	v_exp_f32_e32 v127, v127                                   // 00000000B258: 7EFE417F
	buffer_load_dwordx4 a[104:107], v36, s[20:23], 0 offen     // 00000000B25C: E05C1000 80856824
	v_mul_f32_dpp v240, v252, v112 quad_perm:[0,0,0,0] row_mask:0xf bank_mask:0xf// 00000000B264: 0BE0E0FA FF0000FC
	v_mul_f32_dpp v241, v252, v113 quad_perm:[1,1,1,1] row_mask:0xf bank_mask:0xf// 00000000B26C: 0BE2E2FA FF0055FC
	v_mul_f32_dpp v242, v252, v114 quad_perm:[2,2,2,2] row_mask:0xf bank_mask:0xf// 00000000B274: 0BE4E4FA FF00AAFC
	v_mul_f32_dpp v243, v252, v115 quad_perm:[3,3,3,3] row_mask:0xf bank_mask:0xf// 00000000B27C: 0BE6E6FA FF00FFFC
	v_mul_f32_dpp v244, v253, v116 quad_perm:[0,0,0,0] row_mask:0xf bank_mask:0xf// 00000000B284: 0BE8E8FA FF0000FD
	v_mul_f32_dpp v245, v253, v117 quad_perm:[1,1,1,1] row_mask:0xf bank_mask:0xf// 00000000B28C: 0BEAEAFA FF0055FD
	v_mul_f32_dpp v246, v253, v118 quad_perm:[2,2,2,2] row_mask:0xf bank_mask:0xf// 00000000B294: 0BECECFA FF00AAFD
	v_mul_f32_dpp v247, v253, v119 quad_perm:[3,3,3,3] row_mask:0xf bank_mask:0xf// 00000000B29C: 0BEEEEFA FF00FFFD
	v_mul_f32_dpp v248, v254, v120 quad_perm:[0,0,0,0] row_mask:0xf bank_mask:0xf// 00000000B2A4: 0BF0F0FA FF0000FE
	v_mul_f32_dpp v249, v254, v121 quad_perm:[1,1,1,1] row_mask:0xf bank_mask:0xf// 00000000B2AC: 0BF2F2FA FF0055FE
	v_mul_f32_dpp v250, v254, v122 quad_perm:[2,2,2,2] row_mask:0xf bank_mask:0xf// 00000000B2B4: 0BF4F4FA FF00AAFE
	v_mul_f32_dpp v251, v254, v123 quad_perm:[3,3,3,3] row_mask:0xf bank_mask:0xf// 00000000B2BC: 0BF6F6FA FF00FFFE
	v_mul_f32_dpp v252, v255, v124 quad_perm:[0,0,0,0] row_mask:0xf bank_mask:0xf// 00000000B2C4: 0BF8F8FA FF0000FF
	v_mul_f32_dpp v253, v255, v125 quad_perm:[1,1,1,1] row_mask:0xf bank_mask:0xf// 00000000B2CC: 0BFAFAFA FF0055FF
	v_mul_f32_dpp v254, v255, v126 quad_perm:[2,2,2,2] row_mask:0xf bank_mask:0xf// 00000000B2D4: 0BFCFCFA FF00AAFF
	v_mul_f32_dpp v255, v255, v127 quad_perm:[3,3,3,3] row_mask:0xf bank_mask:0xf// 00000000B2DC: 0BFEFEFA FF00FFFF
	v_mov_b32_e32 v48, 0x358637bd                              // 00000000B2E4: 7E6002FF 358637BD
	v_max3_f32 v48, |v240|, |v241|, v48                        // 00000000B2EC: D1D30330 04C3E3F0
	v_max3_f32 v48, |v242|, |v243|, v48                        // 00000000B2F4: D1D30330 04C3E7F2
	v_max3_f32 v48, |v244|, |v245|, v48                        // 00000000B2FC: D1D30330 04C3EBF4
	v_max3_f32 v48, |v246|, |v247|, v48                        // 00000000B304: D1D30330 04C3EFF6
	v_max3_f32 v48, |v248|, |v249|, v48                        // 00000000B30C: D1D30330 04C3F3F8
	v_max3_f32 v48, |v250|, |v251|, v48                        // 00000000B314: D1D30330 04C3F7FA
	v_max3_f32 v48, |v252|, |v253|, v48                        // 00000000B31C: D1D30330 04C3FBFC
	v_max3_f32 v48, |v254|, |v255|, v48                        // 00000000B324: D1D30330 04C3FFFE
	buffer_load_dwordx4 a[108:111], v37, s[20:23], 0 offen     // 00000000B32C: E05C1000 80856C25
	ds_write_b32 v8, v48 offset:20992                          // 00000000B334: D81A5200 00003008
	v_sub_f32_e32 v49, v11, v15                                // 00000000B33C: 04621F0B
	v_cndmask_b32_e64 v49, v49, 0, s[40:41]                    // 00000000B340: D1000031 00A10131
	v_mov_b32_e32 v11, v15                                     // 00000000B348: 7E16030F
	v_mul_f32_e32 v49, s64, v49                                // 00000000B34C: 0A626240
	v_exp_f32_e32 v49, v49                                     // 00000000B350: 7E624131
	s_waitcnt lgkmcnt(0)                                       // 00000000B354: BF8CC07F
	s_barrier                                                  // 00000000B358: BF8A0000
	ds_read_b32 v64, v7 offset:20992                           // 00000000B35C: D86C5200 40000007
	ds_read_b32 v65, v7 offset:21056                           // 00000000B364: D86C5240 41000007
	ds_read_b32 v66, v7 offset:21120                           // 00000000B36C: D86C5280 42000007
	ds_read_b32 v67, v7 offset:21184                           // 00000000B374: D86C52C0 43000007
	ds_read_b32 v68, v7 offset:21248                           // 00000000B37C: D86C5300 44000007
	ds_read_b32 v69, v7 offset:21312                           // 00000000B384: D86C5340 45000007
	ds_read_b32 v70, v7 offset:21376                           // 00000000B38C: D86C5380 46000007
	ds_read_b32 v71, v7 offset:21440                           // 00000000B394: D86C53C0 47000007
	ds_read_b32 v72, v7 offset:21504                           // 00000000B39C: D86C5400 48000007
	ds_read_b32 v73, v7 offset:21568                           // 00000000B3A4: D86C5440 49000007
	ds_read_b32 v74, v7 offset:21632                           // 00000000B3AC: D86C5480 4A000007
	ds_read_b32 v75, v7 offset:21696                           // 00000000B3B4: D86C54C0 4B000007
	ds_read_b32 v76, v7 offset:21760                           // 00000000B3BC: D86C5500 4C000007
	ds_read_b32 v77, v7 offset:21824                           // 00000000B3C4: D86C5540 4D000007
	ds_read_b32 v78, v7 offset:21888                           // 00000000B3CC: D86C5580 4E000007
	ds_read_b32 v79, v7 offset:21952                           // 00000000B3D4: D86C55C0 4F000007
	v_mul_f32_e32 v38, v49, v38                                // 00000000B3DC: 0A4C4D31
	v_mov_b32_e32 v15, v112                                    // 00000000B3E0: 7E1E0370
	v_add_f32_e32 v15, v113, v15                               // 00000000B3E4: 021E1F71
	v_add_f32_e32 v15, v114, v15                               // 00000000B3E8: 021E1F72
	v_add_f32_e32 v15, v115, v15                               // 00000000B3EC: 021E1F73
	v_add_f32_e32 v15, v116, v15                               // 00000000B3F0: 021E1F74
	v_add_f32_e32 v15, v117, v15                               // 00000000B3F4: 021E1F75
	v_add_f32_e32 v15, v118, v15                               // 00000000B3F8: 021E1F76
	v_add_f32_e32 v15, v119, v15                               // 00000000B3FC: 021E1F77
	v_add_f32_e32 v15, v120, v15                               // 00000000B400: 021E1F78
	v_add_f32_e32 v15, v121, v15                               // 00000000B404: 021E1F79
	v_add_f32_e32 v15, v122, v15                               // 00000000B408: 021E1F7A
	v_add_f32_e32 v15, v123, v15                               // 00000000B40C: 021E1F7B
	v_add_f32_e32 v15, v124, v15                               // 00000000B410: 021E1F7C
	v_add_f32_e32 v15, v125, v15                               // 00000000B414: 021E1F7D
	v_add_f32_e32 v15, v126, v15                               // 00000000B418: 021E1F7E
	v_add_f32_e32 v15, v127, v15                               // 00000000B41C: 021E1F7F
	v_add_f32_e32 v38, v15, v38                                // 00000000B420: 024C4D0F
	s_waitcnt lgkmcnt(0)                                       // 00000000B424: BF8CC07F
	v_max3_f32 v48, |v64|, |v65|, v48                          // 00000000B428: D1D30330 04C28340
	v_max3_f32 v48, |v66|, |v67|, v48                          // 00000000B430: D1D30330 04C28742
	v_max3_f32 v48, |v68|, |v69|, v48                          // 00000000B438: D1D30330 04C28B44
	v_max3_f32 v48, |v70|, |v71|, v48                          // 00000000B440: D1D30330 04C28F46
	v_max3_f32 v48, |v72|, |v73|, v48                          // 00000000B448: D1D30330 04C29348
	v_max3_f32 v48, |v74|, |v75|, v48                          // 00000000B450: D1D30330 04C2974A
	v_max3_f32 v48, |v76|, |v77|, v48                          // 00000000B458: D1D30330 04C29B4C
	v_max3_f32 v48, |v78|, |v79|, v48                          // 00000000B460: D1D30330 04C29F4E
	s_nop 2                                                    // 00000000B468: BF800002
	v_rcp_f32_e32 v48, v48                                     // 00000000B46C: 7E604530
	s_nop 1                                                    // 00000000B470: BF800001
	v_mul_f32_e32 v48, 0x42fe0000, v48                         // 00000000B474: 0A6060FF 42FE0000
	v_mul_f32_e32 v112, v48, v240                              // 00000000B47C: 0AE1E130
	v_mul_f32_e32 v113, v48, v241                              // 00000000B480: 0AE3E330
	v_mul_f32_e32 v114, v48, v242                              // 00000000B484: 0AE5E530
	v_mul_f32_e32 v115, v48, v243                              // 00000000B488: 0AE7E730
	v_mul_f32_e32 v116, v48, v244                              // 00000000B48C: 0AE9E930
	v_mul_f32_e32 v117, v48, v245                              // 00000000B490: 0AEBEB30
	v_mul_f32_e32 v118, v48, v246                              // 00000000B494: 0AEDED30
	v_mul_f32_e32 v119, v48, v247                              // 00000000B498: 0AEFEF30
	v_mul_f32_e32 v120, v48, v248                              // 00000000B49C: 0AF1F130
	v_mul_f32_e32 v121, v48, v249                              // 00000000B4A0: 0AF3F330
	v_mul_f32_e32 v122, v48, v250                              // 00000000B4A4: 0AF5F530
	v_mul_f32_e32 v123, v48, v251                              // 00000000B4A8: 0AF7F730
	v_mul_f32_e32 v124, v48, v252                              // 00000000B4AC: 0AF9F930
	v_mul_f32_e32 v125, v48, v253                              // 00000000B4B0: 0AFBFB30
	v_mul_f32_e32 v126, v48, v254                              // 00000000B4B4: 0AFDFD30
	v_mul_f32_e32 v127, v48, v255                              // 00000000B4B8: 0AFFFF30
	v_cvt_i32_f32_e32 v112, v112                               // 00000000B4BC: 7EE01170
	v_cvt_i32_f32_e32 v113, v113                               // 00000000B4C0: 7EE21171
	v_cvt_i32_f32_e32 v114, v114                               // 00000000B4C4: 7EE41172
	v_cvt_i32_f32_e32 v115, v115                               // 00000000B4C8: 7EE61173
	v_cvt_i32_f32_e32 v116, v116                               // 00000000B4CC: 7EE81174
	v_cvt_i32_f32_e32 v117, v117                               // 00000000B4D0: 7EEA1175
	v_cvt_i32_f32_e32 v118, v118                               // 00000000B4D4: 7EEC1176
	v_cvt_i32_f32_e32 v119, v119                               // 00000000B4D8: 7EEE1177
	v_cvt_i32_f32_e32 v120, v120                               // 00000000B4DC: 7EF01178
	v_cvt_i32_f32_e32 v121, v121                               // 00000000B4E0: 7EF21179
	v_cvt_i32_f32_e32 v122, v122                               // 00000000B4E4: 7EF4117A
	v_cvt_i32_f32_e32 v123, v123                               // 00000000B4E8: 7EF6117B
	v_cvt_i32_f32_e32 v124, v124                               // 00000000B4EC: 7EF8117C
	v_cvt_i32_f32_e32 v125, v125                               // 00000000B4F0: 7EFA117D
	v_cvt_i32_f32_e32 v126, v126                               // 00000000B4F4: 7EFC117E
	v_cvt_i32_f32_e32 v127, v127                               // 00000000B4F8: 7EFE117F
	v_perm_b32 v112, v113, v112, s53                           // 00000000B4FC: D1ED0070 00D6E171
	v_perm_b32 v112, v114, v112, s54                           // 00000000B504: D1ED0070 00DAE172
	v_perm_b32 v112, v115, v112, s55                           // 00000000B50C: D1ED0070 00DEE173
	v_perm_b32 v113, v117, v116, s53                           // 00000000B514: D1ED0071 00D6E975
	v_perm_b32 v113, v118, v113, s54                           // 00000000B51C: D1ED0071 00DAE376
	v_perm_b32 v113, v119, v113, s55                           // 00000000B524: D1ED0071 00DEE377
	v_perm_b32 v114, v121, v120, s53                           // 00000000B52C: D1ED0072 00D6F179
	v_perm_b32 v114, v122, v114, s54                           // 00000000B534: D1ED0072 00DAE57A
	v_perm_b32 v114, v123, v114, s55                           // 00000000B53C: D1ED0072 00DEE57B
	v_perm_b32 v115, v125, v124, s53                           // 00000000B544: D1ED0073 00D6F97D
	v_perm_b32 v115, v126, v115, s54                           // 00000000B54C: D1ED0073 00DAE77E
	v_perm_b32 v115, v127, v115, s55                           // 00000000B554: D1ED0073 00DEE77F
	ds_write_b32 v10, v112 offset:25088                        // 00000000B55C: D81A6200 0000700A
	ds_write_b32 v10, v113 offset:26112                        // 00000000B564: D81A6600 0000710A
	ds_write_b32 v10, v114 offset:27136                        // 00000000B56C: D81A6A00 0000720A
	ds_write_b32 v10, v115 offset:28160                        // 00000000B574: D81A6E00 0000730A
	v_add_f32_e32 v208, v208, v176                             // 00000000B57C: 03A161D0
	v_add_f32_e32 v209, v209, v177                             // 00000000B580: 03A363D1
	v_add_f32_e32 v210, v210, v178                             // 00000000B584: 03A565D2
	v_add_f32_e32 v211, v211, v179                             // 00000000B588: 03A767D3
	v_add_f32_e32 v212, v212, v180                             // 00000000B58C: 03A969D4
	v_add_f32_e32 v213, v213, v181                             // 00000000B590: 03AB6BD5
	v_add_f32_e32 v214, v214, v182                             // 00000000B594: 03AD6DD6
	v_add_f32_e32 v215, v215, v183                             // 00000000B598: 03AF6FD7
	v_rcp_f32_e32 v44, v48                                     // 00000000B59C: 7E584530
	s_waitcnt lgkmcnt(0)                                       // 00000000B5A0: BF8CC07F
	s_barrier                                                  // 00000000B5A4: BF8A0000
	ds_read_b64 v[112:113], v9 offset:25088                    // 00000000B5A8: D8EC6200 70000009
	ds_read_b64 v[114:115], v9 offset:25216                    // 00000000B5B0: D8EC6280 72000009
	ds_read_b64 v[116:117], v9 offset:26112                    // 00000000B5B8: D8EC6600 74000009
	ds_read_b64 v[118:119], v9 offset:26240                    // 00000000B5C0: D8EC6680 76000009
	ds_read_b64 v[120:121], v9 offset:27136                    // 00000000B5C8: D8EC6A00 78000009
	ds_read_b64 v[122:123], v9 offset:27264                    // 00000000B5D0: D8EC6A80 7A000009
	ds_read_b64 v[124:125], v9 offset:28160                    // 00000000B5D8: D8EC6E00 7C000009
	ds_read_b64 v[126:127], v9 offset:28288                    // 00000000B5E0: D8EC6E80 7E000009
	v_mov_b32_dpp v64, v42 row_shr:4 row_mask:0xf bank_mask:0xf// 00000000B5E8: 7E8002FA FF01142A
	v_mov_b32_dpp v65, v42 row_shl:4 row_mask:0xf bank_mask:0xf// 00000000B5F0: 7E8202FA FF01042A
	v_cndmask_b32_e64 v248, v42, v64, s[44:45]                 // 00000000B5F8: D10000F8 00B2812A
	v_cndmask_b32_e64 v249, v65, v42, s[44:45]                 // 00000000B600: D10000F9 00B25541
	v_mov_b32_dpp v64, v248 row_shr:8 row_mask:0xf bank_mask:0xf// 00000000B608: 7E8002FA FF0118F8
	v_mov_b32_dpp v65, v248 row_shl:8 row_mask:0xf bank_mask:0xf// 00000000B610: 7E8202FA FF0108F8
	v_mov_b32_dpp v66, v249 row_shr:8 row_mask:0xf bank_mask:0xf// 00000000B618: 7E8402FA FF0118F9
	v_mov_b32_dpp v67, v249 row_shl:8 row_mask:0xf bank_mask:0xf// 00000000B620: 7E8602FA FF0108F9
	v_mov_b32_e32 v68, v248                                    // 00000000B628: 7E8803F8
	v_mov_b32_e32 v69, v249                                    // 00000000B62C: 7E8A03F9
	v_cndmask_b32_e64 v248, v68, v64, s[42:43]                 // 00000000B630: D10000F8 00AA8144
	v_cndmask_b32_e64 v250, v68, v65, s[78:79]                 // 00000000B638: D10000FA 013A8344
	v_cndmask_b32_e64 v249, v69, v66, s[42:43]                 // 00000000B640: D10000F9 00AA8545
	v_cndmask_b32_e64 v251, v69, v67, s[78:79]                 // 00000000B648: D10000FB 013A8745
	v_mov_b32_dpp v64, v57 row_shr:4 row_mask:0xf bank_mask:0xf// 00000000B650: 7E8002FA FF011439
	v_mov_b32_dpp v65, v57 row_shl:4 row_mask:0xf bank_mask:0xf// 00000000B658: 7E8202FA FF010439
	v_cndmask_b32_e64 v252, v57, v64, s[44:45]                 // 00000000B660: D10000FC 00B28139
	v_cndmask_b32_e64 v253, v65, v57, s[44:45]                 // 00000000B668: D10000FD 00B27341
	v_mov_b32_dpp v64, v252 row_shr:8 row_mask:0xf bank_mask:0xf// 00000000B670: 7E8002FA FF0118FC
	v_mov_b32_dpp v65, v252 row_shl:8 row_mask:0xf bank_mask:0xf// 00000000B678: 7E8202FA FF0108FC
	v_mov_b32_dpp v66, v253 row_shr:8 row_mask:0xf bank_mask:0xf// 00000000B680: 7E8402FA FF0118FD
	v_mov_b32_dpp v67, v253 row_shl:8 row_mask:0xf bank_mask:0xf// 00000000B688: 7E8602FA FF0108FD
	v_mov_b32_e32 v68, v252                                    // 00000000B690: 7E8803FC
	v_mov_b32_e32 v69, v253                                    // 00000000B694: 7E8A03FD
	v_cndmask_b32_e64 v252, v68, v64, s[42:43]                 // 00000000B698: D10000FC 00AA8144
	v_cndmask_b32_e64 v254, v68, v65, s[78:79]                 // 00000000B6A0: D10000FE 013A8344
	v_cndmask_b32_e64 v253, v69, v66, s[42:43]                 // 00000000B6A8: D10000FD 00AA8545
	v_cndmask_b32_e64 v255, v69, v67, s[78:79]                 // 00000000B6B0: D10000FF 013A8745
	v_cvt_f32_i32_e32 v128, v128                               // 00000000B6B8: 7F000B80
	v_cvt_f32_i32_e32 v129, v129                               // 00000000B6BC: 7F020B81
	v_cvt_f32_i32_e32 v130, v130                               // 00000000B6C0: 7F040B82
	v_cvt_f32_i32_e32 v131, v131                               // 00000000B6C4: 7F060B83
	v_cvt_f32_i32_e32 v132, v132                               // 00000000B6C8: 7F080B84
	v_cvt_f32_i32_e32 v133, v133                               // 00000000B6CC: 7F0A0B85
	v_cvt_f32_i32_e32 v134, v134                               // 00000000B6D0: 7F0C0B86
	v_cvt_f32_i32_e32 v135, v135                               // 00000000B6D4: 7F0E0B87
	v_cvt_f32_i32_e32 v136, v136                               // 00000000B6D8: 7F100B88
	v_cvt_f32_i32_e32 v137, v137                               // 00000000B6DC: 7F120B89
	v_cvt_f32_i32_e32 v138, v138                               // 00000000B6E0: 7F140B8A
	v_cvt_f32_i32_e32 v139, v139                               // 00000000B6E4: 7F160B8B
	v_cvt_f32_i32_e32 v140, v140                               // 00000000B6E8: 7F180B8C
	v_cvt_f32_i32_e32 v141, v141                               // 00000000B6EC: 7F1A0B8D
	v_cvt_f32_i32_e32 v142, v142                               // 00000000B6F0: 7F1C0B8E
	v_cvt_f32_i32_e32 v143, v143                               // 00000000B6F4: 7F1E0B8F
	v_mul_f32_e32 v128, v19, v128                              // 00000000B6F8: 0B010113
	v_mul_f32_e32 v129, v19, v129                              // 00000000B6FC: 0B030313
	v_mul_f32_e32 v130, v19, v130                              // 00000000B700: 0B050513
	v_mul_f32_e32 v131, v19, v131                              // 00000000B704: 0B070713
	v_mul_f32_e32 v132, v19, v132                              // 00000000B708: 0B090913
	v_mul_f32_e32 v133, v19, v133                              // 00000000B70C: 0B0B0B13
	v_mul_f32_e32 v134, v19, v134                              // 00000000B710: 0B0D0D13
	v_mul_f32_e32 v135, v19, v135                              // 00000000B714: 0B0F0F13
	v_mul_f32_e32 v136, v19, v136                              // 00000000B718: 0B111113
	v_mul_f32_e32 v137, v19, v137                              // 00000000B71C: 0B131313
	v_mul_f32_e32 v138, v19, v138                              // 00000000B720: 0B151513
	v_mul_f32_e32 v139, v19, v139                              // 00000000B724: 0B171713
	v_mul_f32_e32 v140, v19, v140                              // 00000000B728: 0B191913
	v_mul_f32_e32 v141, v19, v141                              // 00000000B72C: 0B1B1B13
	v_mul_f32_e32 v142, v19, v142                              // 00000000B730: 0B1D1D13
	v_mul_f32_e32 v143, v19, v143                              // 00000000B734: 0B1F1F13
	v_mul_f32_dpp v128, v248, v128 quad_perm:[0,0,0,0] row_mask:0xf bank_mask:0xf// 00000000B738: 0B0100FA FF0000F8
	v_mul_f32_dpp v129, v248, v129 quad_perm:[1,1,1,1] row_mask:0xf bank_mask:0xf// 00000000B740: 0B0302FA FF0055F8
	v_mul_f32_dpp v130, v248, v130 quad_perm:[2,2,2,2] row_mask:0xf bank_mask:0xf// 00000000B748: 0B0504FA FF00AAF8
	v_mul_f32_dpp v131, v248, v131 quad_perm:[3,3,3,3] row_mask:0xf bank_mask:0xf// 00000000B750: 0B0706FA FF00FFF8
	v_mul_f32_dpp v132, v249, v132 quad_perm:[0,0,0,0] row_mask:0xf bank_mask:0xf// 00000000B758: 0B0908FA FF0000F9
	v_mul_f32_dpp v133, v249, v133 quad_perm:[1,1,1,1] row_mask:0xf bank_mask:0xf// 00000000B760: 0B0B0AFA FF0055F9
	v_mul_f32_dpp v134, v249, v134 quad_perm:[2,2,2,2] row_mask:0xf bank_mask:0xf// 00000000B768: 0B0D0CFA FF00AAF9
	v_mul_f32_dpp v135, v249, v135 quad_perm:[3,3,3,3] row_mask:0xf bank_mask:0xf// 00000000B770: 0B0F0EFA FF00FFF9
	v_mul_f32_dpp v136, v250, v136 quad_perm:[0,0,0,0] row_mask:0xf bank_mask:0xf// 00000000B778: 0B1110FA FF0000FA
	v_mul_f32_dpp v137, v250, v137 quad_perm:[1,1,1,1] row_mask:0xf bank_mask:0xf// 00000000B780: 0B1312FA FF0055FA
	v_mul_f32_dpp v138, v250, v138 quad_perm:[2,2,2,2] row_mask:0xf bank_mask:0xf// 00000000B788: 0B1514FA FF00AAFA
	v_mul_f32_dpp v139, v250, v139 quad_perm:[3,3,3,3] row_mask:0xf bank_mask:0xf// 00000000B790: 0B1716FA FF00FFFA
	v_mul_f32_dpp v140, v251, v140 quad_perm:[0,0,0,0] row_mask:0xf bank_mask:0xf// 00000000B798: 0B1918FA FF0000FB
	v_mul_f32_dpp v141, v251, v141 quad_perm:[1,1,1,1] row_mask:0xf bank_mask:0xf// 00000000B7A0: 0B1B1AFA FF0055FB
	v_mul_f32_dpp v142, v251, v142 quad_perm:[2,2,2,2] row_mask:0xf bank_mask:0xf// 00000000B7A8: 0B1D1CFA FF00AAFB
	v_mul_f32_dpp v143, v251, v143 quad_perm:[3,3,3,3] row_mask:0xf bank_mask:0xf// 00000000B7B0: 0B1F1EFA FF00FFFB
	s_cmp_le_i32 s90, s89                                      // 00000000B7B8: BF05595A
	s_cbranch_scc1 label_25E1                                  // 00000000B7BC: BF850071
	v_mov_b32_e32 v66, 0xff800000                              // 00000000B7C0: 7E8402FF FF800000
	s_mov_b32 s60, s90                                         // 00000000B7C8: BEBC005A
	s_add_u32 s61, s89, 0xff                                   // 00000000B7CC: 803DFF59 000000FF
	v_mov_b32_e32 v64, s61                                     // 00000000B7D4: 7E80023D
	v_lshrrev_b32_e32 v240, 4, v0                              // 00000000B7D8: 21E00084
	v_mul_i32_i24_e32 v240, 4, v240                            // 00000000B7DC: 0DE1E084
	v_add_u32_e32 v240, s60, v240                              // 00000000B7E0: 69E1E03C
	s_mov_b32 s61, 1                                           // 00000000B7E4: BEBD0081
	s_mul_i32 s60, 16, s7                                      // 00000000B7E8: 923C0790
	v_sub_u32_e64 v240, v240, s61                              // 00000000B7EC: D13500F0 00007BF0
	v_add_u32_e32 v240, s60, v240                              // 00000000B7F4: 69E1E03C
	v_add_u32_e32 v241, 1, v240                                // 00000000B7F8: 69E3E081
	v_add_u32_e32 v242, 2, v240                                // 00000000B7FC: 69E5E082
	v_add_u32_e32 v243, 3, v240                                // 00000000B800: 69E7E083
	v_cmp_le_u32_e64 s[40:41], v240, v64                       // 00000000B804: D0CB0028 000281F0
	v_add_u32_e32 v240, 64, v240                               // 00000000B80C: 69E1E0C0
	s_nop 0                                                    // 00000000B810: BF800000
	v_cndmask_b32_e64 v128, v66, v128, s[40:41]                // 00000000B814: D1000080 00A30142
	v_cmp_le_u32_e64 s[40:41], v241, v64                       // 00000000B81C: D0CB0028 000281F1
	v_add_u32_e32 v241, 64, v241                               // 00000000B824: 69E3E2C0
	s_nop 0                                                    // 00000000B828: BF800000
	v_cndmask_b32_e64 v129, v66, v129, s[40:41]                // 00000000B82C: D1000081 00A30342
	v_cmp_le_u32_e64 s[40:41], v242, v64                       // 00000000B834: D0CB0028 000281F2
	v_add_u32_e32 v242, 64, v242                               // 00000000B83C: 69E5E4C0
	s_nop 0                                                    // 00000000B840: BF800000
	v_cndmask_b32_e64 v130, v66, v130, s[40:41]                // 00000000B844: D1000082 00A30542
	v_cmp_le_u32_e64 s[40:41], v243, v64                       // 00000000B84C: D0CB0028 000281F3
	v_add_u32_e32 v243, 64, v243                               // 00000000B854: 69E7E6C0
	s_nop 0                                                    // 00000000B858: BF800000
	v_cndmask_b32_e64 v131, v66, v131, s[40:41]                // 00000000B85C: D1000083 00A30742
	v_cmp_le_u32_e64 s[40:41], v240, v64                       // 00000000B864: D0CB0028 000281F0
	v_add_u32_e32 v240, 64, v240                               // 00000000B86C: 69E1E0C0
	s_nop 0                                                    // 00000000B870: BF800000
	v_cndmask_b32_e64 v132, v66, v132, s[40:41]                // 00000000B874: D1000084 00A30942
	v_cmp_le_u32_e64 s[40:41], v241, v64                       // 00000000B87C: D0CB0028 000281F1
	v_add_u32_e32 v241, 64, v241                               // 00000000B884: 69E3E2C0
	s_nop 0                                                    // 00000000B888: BF800000
	v_cndmask_b32_e64 v133, v66, v133, s[40:41]                // 00000000B88C: D1000085 00A30B42
	v_cmp_le_u32_e64 s[40:41], v242, v64                       // 00000000B894: D0CB0028 000281F2
	v_add_u32_e32 v242, 64, v242                               // 00000000B89C: 69E5E4C0
	s_nop 0                                                    // 00000000B8A0: BF800000
	v_cndmask_b32_e64 v134, v66, v134, s[40:41]                // 00000000B8A4: D1000086 00A30D42
	v_cmp_le_u32_e64 s[40:41], v243, v64                       // 00000000B8AC: D0CB0028 000281F3
	v_add_u32_e32 v243, 64, v243                               // 00000000B8B4: 69E7E6C0
	s_nop 0                                                    // 00000000B8B8: BF800000
	v_cndmask_b32_e64 v135, v66, v135, s[40:41]                // 00000000B8BC: D1000087 00A30F42
	v_cmp_le_u32_e64 s[40:41], v240, v64                       // 00000000B8C4: D0CB0028 000281F0
	v_add_u32_e32 v240, 64, v240                               // 00000000B8CC: 69E1E0C0
	s_nop 0                                                    // 00000000B8D0: BF800000
	v_cndmask_b32_e64 v136, v66, v136, s[40:41]                // 00000000B8D4: D1000088 00A31142
	v_cmp_le_u32_e64 s[40:41], v241, v64                       // 00000000B8DC: D0CB0028 000281F1
	v_add_u32_e32 v241, 64, v241                               // 00000000B8E4: 69E3E2C0
	s_nop 0                                                    // 00000000B8E8: BF800000
	v_cndmask_b32_e64 v137, v66, v137, s[40:41]                // 00000000B8EC: D1000089 00A31342
	v_cmp_le_u32_e64 s[40:41], v242, v64                       // 00000000B8F4: D0CB0028 000281F2
	v_add_u32_e32 v242, 64, v242                               // 00000000B8FC: 69E5E4C0
	s_nop 0                                                    // 00000000B900: BF800000
	v_cndmask_b32_e64 v138, v66, v138, s[40:41]                // 00000000B904: D100008A 00A31542
	v_cmp_le_u32_e64 s[40:41], v243, v64                       // 00000000B90C: D0CB0028 000281F3
	v_add_u32_e32 v243, 64, v243                               // 00000000B914: 69E7E6C0
	s_nop 0                                                    // 00000000B918: BF800000
	v_cndmask_b32_e64 v139, v66, v139, s[40:41]                // 00000000B91C: D100008B 00A31742
	v_cmp_le_u32_e64 s[40:41], v240, v64                       // 00000000B924: D0CB0028 000281F0
	v_add_u32_e32 v240, 64, v240                               // 00000000B92C: 69E1E0C0
	s_nop 0                                                    // 00000000B930: BF800000
	v_cndmask_b32_e64 v140, v66, v140, s[40:41]                // 00000000B934: D100008C 00A31942
	v_cmp_le_u32_e64 s[40:41], v241, v64                       // 00000000B93C: D0CB0028 000281F1
	v_add_u32_e32 v241, 64, v241                               // 00000000B944: 69E3E2C0
	s_nop 0                                                    // 00000000B948: BF800000
	v_cndmask_b32_e64 v141, v66, v141, s[40:41]                // 00000000B94C: D100008D 00A31B42
	v_cmp_le_u32_e64 s[40:41], v242, v64                       // 00000000B954: D0CB0028 000281F2
	v_add_u32_e32 v242, 64, v242                               // 00000000B95C: 69E5E4C0
	s_nop 0                                                    // 00000000B960: BF800000
	v_cndmask_b32_e64 v142, v66, v142, s[40:41]                // 00000000B964: D100008E 00A31D42
	v_cmp_le_u32_e64 s[40:41], v243, v64                       // 00000000B96C: D0CB0028 000281F3
	v_add_u32_e32 v243, 64, v243                               // 00000000B974: 69E7E6C0
	s_nop 0                                                    // 00000000B978: BF800000
	v_cndmask_b32_e64 v143, v66, v143, s[40:41]                // 00000000B97C: D100008F 00A31F42

000000000000b984 <label_25E1>:
	s_add_u32 s90, s91, s90                                    // 00000000B984: 805A5A5B
	v_mov_b32_e32 v48, v128                                    // 00000000B988: 7E600380
	v_max3_f32 v48, v128, v129, v48                            // 00000000B98C: D1D30030 04C30380
	v_max3_f32 v48, v130, v131, v48                            // 00000000B994: D1D30030 04C30782
	v_max3_f32 v48, v132, v133, v48                            // 00000000B99C: D1D30030 04C30B84
	v_max3_f32 v48, v134, v135, v48                            // 00000000B9A4: D1D30030 04C30F86
	v_max3_f32 v48, v136, v137, v48                            // 00000000B9AC: D1D30030 04C31388
	v_max3_f32 v48, v138, v139, v48                            // 00000000B9B4: D1D30030 04C3178A
	v_max3_f32 v48, v140, v141, v48                            // 00000000B9BC: D1D30030 04C31B8C
	v_max3_f32 v48, v142, v143, v48                            // 00000000B9C4: D1D30030 04C31F8E
	ds_write_b32 v8, v48 offset:16896                          // 00000000B9CC: D81A4200 00003008
	v_mul_f32_e32 v216, v50, v216                              // 00000000B9D4: 0BB1B132
	v_mul_f32_e32 v217, v50, v217                              // 00000000B9D8: 0BB3B332
	v_mul_f32_e32 v218, v50, v218                              // 00000000B9DC: 0BB5B532
	v_mul_f32_e32 v219, v50, v219                              // 00000000B9E0: 0BB7B732
	v_mul_f32_e32 v220, v50, v220                              // 00000000B9E4: 0BB9B932
	v_mul_f32_e32 v221, v50, v221                              // 00000000B9E8: 0BBBBB32
	v_mul_f32_e32 v222, v50, v222                              // 00000000B9EC: 0BBDBD32
	v_mul_f32_e32 v223, v50, v223                              // 00000000B9F0: 0BBFBF32
	s_waitcnt lgkmcnt(0)                                       // 00000000B9F4: BF8CC07F
	s_barrier                                                  // 00000000B9F8: BF8A0000
	ds_read_b32 v64, v7 offset:16896                           // 00000000B9FC: D86C4200 40000007
	ds_read_b32 v65, v7 offset:16960                           // 00000000BA04: D86C4240 41000007
	ds_read_b32 v66, v7 offset:17024                           // 00000000BA0C: D86C4280 42000007
	ds_read_b32 v67, v7 offset:17088                           // 00000000BA14: D86C42C0 43000007
	ds_read_b32 v68, v7 offset:17152                           // 00000000BA1C: D86C4300 44000007
	ds_read_b32 v69, v7 offset:17216                           // 00000000BA24: D86C4340 45000007
	ds_read_b32 v70, v7 offset:17280                           // 00000000BA2C: D86C4380 46000007
	ds_read_b32 v71, v7 offset:17344                           // 00000000BA34: D86C43C0 47000007
	ds_read_b32 v72, v7 offset:17408                           // 00000000BA3C: D86C4400 48000007
	ds_read_b32 v73, v7 offset:17472                           // 00000000BA44: D86C4440 49000007
	ds_read_b32 v74, v7 offset:17536                           // 00000000BA4C: D86C4480 4A000007
	ds_read_b32 v75, v7 offset:17600                           // 00000000BA54: D86C44C0 4B000007
	ds_read_b32 v76, v7 offset:17664                           // 00000000BA5C: D86C4500 4C000007
	ds_read_b32 v77, v7 offset:17728                           // 00000000BA64: D86C4540 4D000007
	ds_read_b32 v78, v7 offset:17792                           // 00000000BA6C: D86C4580 4E000007
	ds_read_b32 v79, v7 offset:17856                           // 00000000BA74: D86C45C0 4F000007
	v_cvt_f32_i32_e32 v184, v184                               // 00000000BA7C: 7F700BB8
	v_cvt_f32_i32_e32 v185, v185                               // 00000000BA80: 7F720BB9
	v_cvt_f32_i32_e32 v186, v186                               // 00000000BA84: 7F740BBA
	v_cvt_f32_i32_e32 v187, v187                               // 00000000BA88: 7F760BBB
	v_cvt_f32_i32_e32 v188, v188                               // 00000000BA8C: 7F780BBC
	v_cvt_f32_i32_e32 v189, v189                               // 00000000BA90: 7F7A0BBD
	v_cvt_f32_i32_e32 v190, v190                               // 00000000BA94: 7F7C0BBE
	v_cvt_f32_i32_e32 v191, v191                               // 00000000BA98: 7F7E0BBF
	v_mul_f32_e32 v184, v45, v184                              // 00000000BA9C: 0B71712D
	v_mul_f32_e32 v185, v45, v185                              // 00000000BAA0: 0B73732D
	v_mul_f32_e32 v186, v45, v186                              // 00000000BAA4: 0B75752D
	v_mul_f32_e32 v187, v45, v187                              // 00000000BAA8: 0B77772D
	v_mul_f32_e32 v188, v45, v188                              // 00000000BAAC: 0B79792D
	v_mul_f32_e32 v189, v45, v189                              // 00000000BAB0: 0B7B7B2D
	v_mul_f32_e32 v190, v45, v190                              // 00000000BAB4: 0B7D7D2D
	v_mul_f32_e32 v191, v45, v191                              // 00000000BAB8: 0B7F7F2D
	s_waitcnt lgkmcnt(0)                                       // 00000000BABC: BF8CC07F
	v_max3_f32 v48, v64, v65, v48                              // 00000000BAC0: D1D30030 04C28340
	v_max3_f32 v48, v66, v67, v48                              // 00000000BAC8: D1D30030 04C28742
	v_max3_f32 v48, v68, v69, v48                              // 00000000BAD0: D1D30030 04C28B44
	v_max3_f32 v48, v70, v71, v48                              // 00000000BAD8: D1D30030 04C28F46
	v_max3_f32 v48, v72, v73, v48                              // 00000000BAE0: D1D30030 04C29348
	v_max3_f32 v48, v74, v75, v48                              // 00000000BAE8: D1D30030 04C2974A
	v_max3_f32 v48, v76, v77, v48                              // 00000000BAF0: D1D30030 04C29B4C
	v_max3_f32 v48, v78, v79, v48                              // 00000000BAF8: D1D30030 04C29F4E
	v_mov_b32_e32 v64, 0xff800000                              // 00000000BB00: 7E8002FF FF800000
	v_cmp_eq_u32_e64 s[40:41], v64, v12                        // 00000000BB08: D0CA0028 00021940
	s_nop 1                                                    // 00000000BB10: BF800001
	v_max_f32_e32 v15, v48, v12                                // 00000000BB14: 161E1930
	v_mul_f32_e32 v53, s64, v15                                // 00000000BB18: 0A6A1E40
	v_fma_f32 v128, v128, s64, -v53                            // 00000000BB1C: D1CB0080 84D48180
	v_fma_f32 v129, v129, s64, -v53                            // 00000000BB24: D1CB0081 84D48181
	v_fma_f32 v130, v130, s64, -v53                            // 00000000BB2C: D1CB0082 84D48182
	v_fma_f32 v131, v131, s64, -v53                            // 00000000BB34: D1CB0083 84D48183
	v_fma_f32 v132, v132, s64, -v53                            // 00000000BB3C: D1CB0084 84D48184
	v_fma_f32 v133, v133, s64, -v53                            // 00000000BB44: D1CB0085 84D48185
	v_fma_f32 v134, v134, s64, -v53                            // 00000000BB4C: D1CB0086 84D48186
	v_fma_f32 v135, v135, s64, -v53                            // 00000000BB54: D1CB0087 84D48187
	v_fma_f32 v136, v136, s64, -v53                            // 00000000BB5C: D1CB0088 84D48188
	v_fma_f32 v137, v137, s64, -v53                            // 00000000BB64: D1CB0089 84D48189
	v_fma_f32 v138, v138, s64, -v53                            // 00000000BB6C: D1CB008A 84D4818A
	v_fma_f32 v139, v139, s64, -v53                            // 00000000BB74: D1CB008B 84D4818B
	v_fma_f32 v140, v140, s64, -v53                            // 00000000BB7C: D1CB008C 84D4818C
	v_fma_f32 v141, v141, s64, -v53                            // 00000000BB84: D1CB008D 84D4818D
	v_fma_f32 v142, v142, s64, -v53                            // 00000000BB8C: D1CB008E 84D4818E
	v_fma_f32 v143, v143, s64, -v53                            // 00000000BB94: D1CB008F 84D4818F
	v_exp_f32_e32 v128, v128                                   // 00000000BB9C: 7F004180
	v_exp_f32_e32 v129, v129                                   // 00000000BBA0: 7F024181
	v_exp_f32_e32 v130, v130                                   // 00000000BBA4: 7F044182
	v_exp_f32_e32 v131, v131                                   // 00000000BBA8: 7F064183
	v_exp_f32_e32 v132, v132                                   // 00000000BBAC: 7F084184
	v_exp_f32_e32 v133, v133                                   // 00000000BBB0: 7F0A4185
	v_exp_f32_e32 v134, v134                                   // 00000000BBB4: 7F0C4186
	v_exp_f32_e32 v135, v135                                   // 00000000BBB8: 7F0E4187
	v_exp_f32_e32 v136, v136                                   // 00000000BBBC: 7F104188
	v_exp_f32_e32 v137, v137                                   // 00000000BBC0: 7F124189
	v_exp_f32_e32 v138, v138                                   // 00000000BBC4: 7F14418A
	v_exp_f32_e32 v139, v139                                   // 00000000BBC8: 7F16418B
	v_exp_f32_e32 v140, v140                                   // 00000000BBCC: 7F18418C
	v_exp_f32_e32 v141, v141                                   // 00000000BBD0: 7F1A418D
	v_exp_f32_e32 v142, v142                                   // 00000000BBD4: 7F1C418E
	v_exp_f32_e32 v143, v143                                   // 00000000BBD8: 7F1E418F
	v_mul_f32_dpp v240, v252, v128 quad_perm:[0,0,0,0] row_mask:0xf bank_mask:0xf// 00000000BBDC: 0BE100FA FF0000FC
	v_mul_f32_dpp v241, v252, v129 quad_perm:[1,1,1,1] row_mask:0xf bank_mask:0xf// 00000000BBE4: 0BE302FA FF0055FC
	v_mul_f32_dpp v242, v252, v130 quad_perm:[2,2,2,2] row_mask:0xf bank_mask:0xf// 00000000BBEC: 0BE504FA FF00AAFC
	v_mul_f32_dpp v243, v252, v131 quad_perm:[3,3,3,3] row_mask:0xf bank_mask:0xf// 00000000BBF4: 0BE706FA FF00FFFC
	v_mul_f32_dpp v244, v253, v132 quad_perm:[0,0,0,0] row_mask:0xf bank_mask:0xf// 00000000BBFC: 0BE908FA FF0000FD
	v_mul_f32_dpp v245, v253, v133 quad_perm:[1,1,1,1] row_mask:0xf bank_mask:0xf// 00000000BC04: 0BEB0AFA FF0055FD
	v_mul_f32_dpp v246, v253, v134 quad_perm:[2,2,2,2] row_mask:0xf bank_mask:0xf// 00000000BC0C: 0BED0CFA FF00AAFD
	v_mul_f32_dpp v247, v253, v135 quad_perm:[3,3,3,3] row_mask:0xf bank_mask:0xf// 00000000BC14: 0BEF0EFA FF00FFFD
	v_mul_f32_dpp v248, v254, v136 quad_perm:[0,0,0,0] row_mask:0xf bank_mask:0xf// 00000000BC1C: 0BF110FA FF0000FE
	v_mul_f32_dpp v249, v254, v137 quad_perm:[1,1,1,1] row_mask:0xf bank_mask:0xf// 00000000BC24: 0BF312FA FF0055FE
	v_mul_f32_dpp v250, v254, v138 quad_perm:[2,2,2,2] row_mask:0xf bank_mask:0xf// 00000000BC2C: 0BF514FA FF00AAFE
	v_mul_f32_dpp v251, v254, v139 quad_perm:[3,3,3,3] row_mask:0xf bank_mask:0xf// 00000000BC34: 0BF716FA FF00FFFE
	v_mul_f32_dpp v252, v255, v140 quad_perm:[0,0,0,0] row_mask:0xf bank_mask:0xf// 00000000BC3C: 0BF918FA FF0000FF
	v_mul_f32_dpp v253, v255, v141 quad_perm:[1,1,1,1] row_mask:0xf bank_mask:0xf// 00000000BC44: 0BFB1AFA FF0055FF
	v_mul_f32_dpp v254, v255, v142 quad_perm:[2,2,2,2] row_mask:0xf bank_mask:0xf// 00000000BC4C: 0BFD1CFA FF00AAFF
	v_mul_f32_dpp v255, v255, v143 quad_perm:[3,3,3,3] row_mask:0xf bank_mask:0xf// 00000000BC54: 0BFF1EFA FF00FFFF
	v_mov_b32_e32 v48, 0x358637bd                              // 00000000BC5C: 7E6002FF 358637BD
	v_max3_f32 v48, |v240|, |v241|, v48                        // 00000000BC64: D1D30330 04C3E3F0
	v_max3_f32 v48, |v242|, |v243|, v48                        // 00000000BC6C: D1D30330 04C3E7F2
	v_max3_f32 v48, |v244|, |v245|, v48                        // 00000000BC74: D1D30330 04C3EBF4
	v_max3_f32 v48, |v246|, |v247|, v48                        // 00000000BC7C: D1D30330 04C3EFF6
	v_max3_f32 v48, |v248|, |v249|, v48                        // 00000000BC84: D1D30330 04C3F3F8
	v_max3_f32 v48, |v250|, |v251|, v48                        // 00000000BC8C: D1D30330 04C3F7FA
	v_max3_f32 v48, |v252|, |v253|, v48                        // 00000000BC94: D1D30330 04C3FBFC
	v_max3_f32 v48, |v254|, |v255|, v48                        // 00000000BC9C: D1D30330 04C3FFFE
	ds_write_b32 v8, v48 offset:20992                          // 00000000BCA4: D81A5200 00003008
	v_sub_f32_e32 v50, v12, v15                                // 00000000BCAC: 04641F0C
	v_cndmask_b32_e64 v50, v50, 0, s[40:41]                    // 00000000BCB0: D1000032 00A10132
	v_mov_b32_e32 v12, v15                                     // 00000000BCB8: 7E18030F
	v_mul_f32_e32 v50, s64, v50                                // 00000000BCBC: 0A646440
	v_exp_f32_e32 v50, v50                                     // 00000000BCC0: 7E644132
	s_waitcnt lgkmcnt(0)                                       // 00000000BCC4: BF8CC07F
	s_barrier                                                  // 00000000BCC8: BF8A0000
	ds_read_b32 v64, v7 offset:20992                           // 00000000BCCC: D86C5200 40000007
	ds_read_b32 v65, v7 offset:21056                           // 00000000BCD4: D86C5240 41000007
	ds_read_b32 v66, v7 offset:21120                           // 00000000BCDC: D86C5280 42000007
	ds_read_b32 v67, v7 offset:21184                           // 00000000BCE4: D86C52C0 43000007
	ds_read_b32 v68, v7 offset:21248                           // 00000000BCEC: D86C5300 44000007
	ds_read_b32 v69, v7 offset:21312                           // 00000000BCF4: D86C5340 45000007
	ds_read_b32 v70, v7 offset:21376                           // 00000000BCFC: D86C5380 46000007
	ds_read_b32 v71, v7 offset:21440                           // 00000000BD04: D86C53C0 47000007
	ds_read_b32 v72, v7 offset:21504                           // 00000000BD0C: D86C5400 48000007
	ds_read_b32 v73, v7 offset:21568                           // 00000000BD14: D86C5440 49000007
	ds_read_b32 v74, v7 offset:21632                           // 00000000BD1C: D86C5480 4A000007
	ds_read_b32 v75, v7 offset:21696                           // 00000000BD24: D86C54C0 4B000007
	ds_read_b32 v76, v7 offset:21760                           // 00000000BD2C: D86C5500 4C000007
	ds_read_b32 v77, v7 offset:21824                           // 00000000BD34: D86C5540 4D000007
	ds_read_b32 v78, v7 offset:21888                           // 00000000BD3C: D86C5580 4E000007
	ds_read_b32 v79, v7 offset:21952                           // 00000000BD44: D86C55C0 4F000007
	v_mul_f32_e32 v39, v50, v39                                // 00000000BD4C: 0A4E4F32
	v_mov_b32_e32 v15, v128                                    // 00000000BD50: 7E1E0380
	v_add_f32_e32 v15, v129, v15                               // 00000000BD54: 021E1F81
	v_add_f32_e32 v15, v130, v15                               // 00000000BD58: 021E1F82
	v_add_f32_e32 v15, v131, v15                               // 00000000BD5C: 021E1F83
	v_add_f32_e32 v15, v132, v15                               // 00000000BD60: 021E1F84
	v_add_f32_e32 v15, v133, v15                               // 00000000BD64: 021E1F85
	v_add_f32_e32 v15, v134, v15                               // 00000000BD68: 021E1F86
	v_add_f32_e32 v15, v135, v15                               // 00000000BD6C: 021E1F87
	v_add_f32_e32 v15, v136, v15                               // 00000000BD70: 021E1F88
	v_add_f32_e32 v15, v137, v15                               // 00000000BD74: 021E1F89
	v_add_f32_e32 v15, v138, v15                               // 00000000BD78: 021E1F8A
	v_add_f32_e32 v15, v139, v15                               // 00000000BD7C: 021E1F8B
	v_add_f32_e32 v15, v140, v15                               // 00000000BD80: 021E1F8C
	v_add_f32_e32 v15, v141, v15                               // 00000000BD84: 021E1F8D
	v_add_f32_e32 v15, v142, v15                               // 00000000BD88: 021E1F8E
	v_add_f32_e32 v15, v143, v15                               // 00000000BD8C: 021E1F8F
	v_add_f32_e32 v39, v15, v39                                // 00000000BD90: 024E4F0F
	s_waitcnt lgkmcnt(0)                                       // 00000000BD94: BF8CC07F
	v_max3_f32 v48, |v64|, |v65|, v48                          // 00000000BD98: D1D30330 04C28340
	v_max3_f32 v48, |v66|, |v67|, v48                          // 00000000BDA0: D1D30330 04C28742
	v_max3_f32 v48, |v68|, |v69|, v48                          // 00000000BDA8: D1D30330 04C28B44
	v_max3_f32 v48, |v70|, |v71|, v48                          // 00000000BDB0: D1D30330 04C28F46
	v_max3_f32 v48, |v72|, |v73|, v48                          // 00000000BDB8: D1D30330 04C29348
	v_max3_f32 v48, |v74|, |v75|, v48                          // 00000000BDC0: D1D30330 04C2974A
	v_max3_f32 v48, |v76|, |v77|, v48                          // 00000000BDC8: D1D30330 04C29B4C
	v_max3_f32 v48, |v78|, |v79|, v48                          // 00000000BDD0: D1D30330 04C29F4E
	s_nop 2                                                    // 00000000BDD8: BF800002
	v_rcp_f32_e32 v48, v48                                     // 00000000BDDC: 7E604530
	s_nop 1                                                    // 00000000BDE0: BF800001
	v_mul_f32_e32 v48, 0x42fe0000, v48                         // 00000000BDE4: 0A6060FF 42FE0000
	v_mul_f32_e32 v128, v48, v240                              // 00000000BDEC: 0B01E130
	v_mul_f32_e32 v129, v48, v241                              // 00000000BDF0: 0B03E330
	v_mul_f32_e32 v130, v48, v242                              // 00000000BDF4: 0B05E530
	v_mul_f32_e32 v131, v48, v243                              // 00000000BDF8: 0B07E730
	v_mul_f32_e32 v132, v48, v244                              // 00000000BDFC: 0B09E930
	v_mul_f32_e32 v133, v48, v245                              // 00000000BE00: 0B0BEB30
	v_mul_f32_e32 v134, v48, v246                              // 00000000BE04: 0B0DED30
	v_mul_f32_e32 v135, v48, v247                              // 00000000BE08: 0B0FEF30
	v_mul_f32_e32 v136, v48, v248                              // 00000000BE0C: 0B11F130
	v_mul_f32_e32 v137, v48, v249                              // 00000000BE10: 0B13F330
	v_mul_f32_e32 v138, v48, v250                              // 00000000BE14: 0B15F530
	v_mul_f32_e32 v139, v48, v251                              // 00000000BE18: 0B17F730
	v_mul_f32_e32 v140, v48, v252                              // 00000000BE1C: 0B19F930
	v_mul_f32_e32 v141, v48, v253                              // 00000000BE20: 0B1BFB30
	v_mul_f32_e32 v142, v48, v254                              // 00000000BE24: 0B1DFD30
	v_mul_f32_e32 v143, v48, v255                              // 00000000BE28: 0B1FFF30
	v_cvt_i32_f32_e32 v128, v128                               // 00000000BE2C: 7F001180
	v_cvt_i32_f32_e32 v129, v129                               // 00000000BE30: 7F021181
	v_cvt_i32_f32_e32 v130, v130                               // 00000000BE34: 7F041182
	v_cvt_i32_f32_e32 v131, v131                               // 00000000BE38: 7F061183
	v_cvt_i32_f32_e32 v132, v132                               // 00000000BE3C: 7F081184
	v_cvt_i32_f32_e32 v133, v133                               // 00000000BE40: 7F0A1185
	v_cvt_i32_f32_e32 v134, v134                               // 00000000BE44: 7F0C1186
	v_cvt_i32_f32_e32 v135, v135                               // 00000000BE48: 7F0E1187
	v_cvt_i32_f32_e32 v136, v136                               // 00000000BE4C: 7F101188
	v_cvt_i32_f32_e32 v137, v137                               // 00000000BE50: 7F121189
	v_cvt_i32_f32_e32 v138, v138                               // 00000000BE54: 7F14118A
	v_cvt_i32_f32_e32 v139, v139                               // 00000000BE58: 7F16118B
	v_cvt_i32_f32_e32 v140, v140                               // 00000000BE5C: 7F18118C
	v_cvt_i32_f32_e32 v141, v141                               // 00000000BE60: 7F1A118D
	v_cvt_i32_f32_e32 v142, v142                               // 00000000BE64: 7F1C118E
	v_cvt_i32_f32_e32 v143, v143                               // 00000000BE68: 7F1E118F
	v_perm_b32 v128, v129, v128, s53                           // 00000000BE6C: D1ED0080 00D70181
	v_perm_b32 v128, v130, v128, s54                           // 00000000BE74: D1ED0080 00DB0182
	v_perm_b32 v128, v131, v128, s55                           // 00000000BE7C: D1ED0080 00DF0183
	v_perm_b32 v129, v133, v132, s53                           // 00000000BE84: D1ED0081 00D70985
	v_perm_b32 v129, v134, v129, s54                           // 00000000BE8C: D1ED0081 00DB0386
	v_perm_b32 v129, v135, v129, s55                           // 00000000BE94: D1ED0081 00DF0387
	v_perm_b32 v130, v137, v136, s53                           // 00000000BE9C: D1ED0082 00D71189
	v_perm_b32 v130, v138, v130, s54                           // 00000000BEA4: D1ED0082 00DB058A
	v_perm_b32 v130, v139, v130, s55                           // 00000000BEAC: D1ED0082 00DF058B
	v_perm_b32 v131, v141, v140, s53                           // 00000000BEB4: D1ED0083 00D7198D
	v_perm_b32 v131, v142, v131, s54                           // 00000000BEBC: D1ED0083 00DB078E
	v_perm_b32 v131, v143, v131, s55                           // 00000000BEC4: D1ED0083 00DF078F
	ds_write_b32 v10, v128 offset:29184                        // 00000000BECC: D81A7200 0000800A
	ds_write_b32 v10, v129 offset:30208                        // 00000000BED4: D81A7600 0000810A
	ds_write_b32 v10, v130 offset:31232                        // 00000000BEDC: D81A7A00 0000820A
	ds_write_b32 v10, v131 offset:32256                        // 00000000BEE4: D81A7E00 0000830A
	v_add_f32_e32 v216, v216, v184                             // 00000000BEEC: 03B171D8
	v_add_f32_e32 v217, v217, v185                             // 00000000BEF0: 03B373D9
	v_add_f32_e32 v218, v218, v186                             // 00000000BEF4: 03B575DA
	v_add_f32_e32 v219, v219, v187                             // 00000000BEF8: 03B777DB
	v_add_f32_e32 v220, v220, v188                             // 00000000BEFC: 03B979DC
	v_add_f32_e32 v221, v221, v189                             // 00000000BF00: 03BB7BDD
	v_add_f32_e32 v222, v222, v190                             // 00000000BF04: 03BD7DDE
	v_add_f32_e32 v223, v223, v191                             // 00000000BF08: 03BF7FDF
	v_rcp_f32_e32 v45, v48                                     // 00000000BF0C: 7E5A4530
	s_waitcnt lgkmcnt(0)                                       // 00000000BF10: BF8CC07F
	s_barrier                                                  // 00000000BF14: BF8A0000
	ds_read_b64 v[128:129], v9 offset:29184                    // 00000000BF18: D8EC7200 80000009
	ds_read_b64 v[130:131], v9 offset:29312                    // 00000000BF20: D8EC7280 82000009
	ds_read_b64 v[132:133], v9 offset:30208                    // 00000000BF28: D8EC7600 84000009
	ds_read_b64 v[134:135], v9 offset:30336                    // 00000000BF30: D8EC7680 86000009
	ds_read_b64 v[136:137], v9 offset:31232                    // 00000000BF38: D8EC7A00 88000009
	ds_read_b64 v[138:139], v9 offset:31360                    // 00000000BF40: D8EC7A80 8A000009
	ds_read_b64 v[140:141], v9 offset:32256                    // 00000000BF48: D8EC7E00 8C000009
	ds_read_b64 v[142:143], v9 offset:32384                    // 00000000BF50: D8EC7E80 8E000009
	s_waitcnt vmcnt(15)                                        // 00000000BF58: BF8C0F7F
	v_mfma_i32_16x16x32_i8 v[176:179], a[64:65], v[112:113], 0 // 00000000BF5C: D3D700B0 0A02E140
	buffer_load_dwordx4 a[112:115], v34, s[20:23], 0 offen offset:1024// 00000000BF64: E05C1400 80857022
	v_mfma_i32_16x16x32_i8 v[176:179], a[66:67], v[114:115], v[176:179]// 00000000BF6C: D3D700B0 0EC2E542
	v_mfma_i32_16x16x32_i8 v[176:179], a[68:69], v[116:117], v[176:179]// 00000000BF74: D3D700B0 0EC2E944
	v_mfma_i32_16x16x32_i8 v[176:179], a[70:71], v[118:119], v[176:179]// 00000000BF7C: D3D700B0 0EC2ED46
	v_mfma_i32_16x16x32_i8 v[176:179], a[72:73], v[120:121], v[176:179]// 00000000BF84: D3D700B0 0EC2F148
	buffer_load_dwordx4 a[116:119], v35, s[20:23], 0 offen offset:1024// 00000000BF8C: E05C1400 80857423
	v_mfma_i32_16x16x32_i8 v[176:179], a[74:75], v[122:123], v[176:179]// 00000000BF94: D3D700B0 0EC2F54A
	v_mfma_i32_16x16x32_i8 v[176:179], a[76:77], v[124:125], v[176:179]// 00000000BF9C: D3D700B0 0EC2F94C
	v_mfma_i32_16x16x32_i8 v[176:179], a[78:79], v[126:127], v[176:179]// 00000000BFA4: D3D700B0 0EC2FD4E
	v_mfma_i32_16x16x32_i8 v[180:183], a[80:81], v[112:113], 0 // 00000000BFAC: D3D700B4 0A02E150
	buffer_load_dwordx4 a[120:123], v36, s[20:23], 0 offen offset:1024// 00000000BFB4: E05C1400 80857824
	v_mfma_i32_16x16x32_i8 v[180:183], a[82:83], v[114:115], v[180:183]// 00000000BFBC: D3D700B4 0ED2E552
	v_mfma_i32_16x16x32_i8 v[180:183], a[84:85], v[116:117], v[180:183]// 00000000BFC4: D3D700B4 0ED2E954
	v_mfma_i32_16x16x32_i8 v[180:183], a[86:87], v[118:119], v[180:183]// 00000000BFCC: D3D700B4 0ED2ED56
	v_mfma_i32_16x16x32_i8 v[180:183], a[88:89], v[120:121], v[180:183]// 00000000BFD4: D3D700B4 0ED2F158
	buffer_load_dwordx4 a[124:127], v37, s[20:23], 0 offen offset:1024// 00000000BFDC: E05C1400 80857C25
	v_mfma_i32_16x16x32_i8 v[180:183], a[90:91], v[122:123], v[180:183]// 00000000BFE4: D3D700B4 0ED2F55A
	v_mfma_i32_16x16x32_i8 v[180:183], a[92:93], v[124:125], v[180:183]// 00000000BFEC: D3D700B4 0ED2F95C
	s_lshr_b32 s57, s70, 4                                     // 00000000BFF4: 8F398446
	s_add_u32 s57, 48, s57                                     // 00000000BFF8: 803939B0
	v_mfma_i32_16x16x32_i8 v[180:183], a[94:95], v[126:127], v[180:183]// 00000000BFFC: D3D700B4 0ED2FD5E
	s_cmp_ge_u32 s57, s73                                      // 00000000C004: BF094939
	s_cselect_b32 s56, 0, s56                                  // 00000000C008: 85383880
	v_mfma_i32_16x16x32_i8 v[184:187], a[64:65], v[128:129], 0 // 00000000C00C: D3D700B8 0A030140
	v_mfma_i32_16x16x32_i8 v[184:187], a[66:67], v[130:131], v[184:187]// 00000000C014: D3D700B8 0EE30542
	v_mfma_i32_16x16x32_i8 v[184:187], a[68:69], v[132:133], v[184:187]// 00000000C01C: D3D700B8 0EE30944
	v_mfma_i32_16x16x32_i8 v[184:187], a[70:71], v[134:135], v[184:187]// 00000000C024: D3D700B8 0EE30D46
	v_mfma_i32_16x16x32_i8 v[184:187], a[72:73], v[136:137], v[184:187]// 00000000C02C: D3D700B8 0EE31148
	v_mfma_i32_16x16x32_i8 v[184:187], a[74:75], v[138:139], v[184:187]// 00000000C034: D3D700B8 0EE3154A
	v_mfma_i32_16x16x32_i8 v[184:187], a[76:77], v[140:141], v[184:187]// 00000000C03C: D3D700B8 0EE3194C
	v_mfma_i32_16x16x32_i8 v[184:187], a[78:79], v[142:143], v[184:187]// 00000000C044: D3D700B8 0EE31D4E
	v_mfma_i32_16x16x32_i8 v[188:191], a[80:81], v[128:129], 0 // 00000000C04C: D3D700BC 0A030150
	v_mfma_i32_16x16x32_i8 v[188:191], a[82:83], v[130:131], v[188:191]// 00000000C054: D3D700BC 0EF30552
	v_mfma_i32_16x16x32_i8 v[188:191], a[84:85], v[132:133], v[188:191]// 00000000C05C: D3D700BC 0EF30954
	v_mfma_i32_16x16x32_i8 v[188:191], a[86:87], v[134:135], v[188:191]// 00000000C064: D3D700BC 0EF30D56
	v_mfma_i32_16x16x32_i8 v[188:191], a[88:89], v[136:137], v[188:191]// 00000000C06C: D3D700BC 0EF31158
	v_mfma_i32_16x16x32_i8 v[188:191], a[90:91], v[138:139], v[188:191]// 00000000C074: D3D700BC 0EF3155A
	v_mfma_i32_16x16x32_i8 v[188:191], a[92:93], v[140:141], v[188:191]// 00000000C07C: D3D700BC 0EF3195C
	v_mfma_i32_16x16x32_i8 v[188:191], a[94:95], v[142:143], v[188:191]// 00000000C084: D3D700BC 0EF31D5E
	v_add_u32_e32 v1, s56, v1                                  // 00000000C08C: 68020238
	s_addk_i32 s70, 0x100                                      // 00000000C090: B7460100
	s_cmp_lt_i32 s70, s71                                      // 00000000C094: BF044746
	s_cbranch_scc0 label_221F                                  // 00000000C098: BF84FA78
	s_waitcnt vmcnt(8) lgkmcnt(0)                              // 00000000C09C: BF8C0078
	v_mul_u32_u24_dpp v64, v16, v54 row_newbcast:0 row_mask:0xf bank_mask:0xf// 00000000C0A0: 10806CFA FF015010
	v_mul_u32_u24_dpp v65, v16, v54 row_newbcast:4 row_mask:0xf bank_mask:0xf// 00000000C0A8: 10826CFA FF015410
	v_mul_u32_u24_dpp v66, v16, v54 row_newbcast:8 row_mask:0xf bank_mask:0xf// 00000000C0B0: 10846CFA FF015810
	v_mul_u32_u24_dpp v67, v16, v54 row_newbcast:12 row_mask:0xf bank_mask:0xf// 00000000C0B8: 10866CFA FF015C10
	v_add_u32_e32 v22, v64, v5                                 // 00000000C0C0: 682C0B40
	v_add_u32_e32 v23, v65, v5                                 // 00000000C0C4: 682E0B41
	v_add_u32_e32 v24, v66, v5                                 // 00000000C0C8: 68300B42
	v_add_u32_e32 v25, v67, v5                                 // 00000000C0CC: 68320B43
	v_mul_u32_u24_dpp v64, v16, v63 quad_perm:[0,0,0,0] row_mask:0xf bank_mask:0xf// 00000000C0D0: 10807EFA FF000010
	v_add_u32_e32 v2, v64, v59                                 // 00000000C0D8: 68047740
	v_mul_u32_u24_dpp v64, v16, v63 quad_perm:[0,0,0,0] row_mask:0xf bank_mask:0xf// 00000000C0DC: 10807EFA FF000010
	v_add_u32_e32 v55, v64, v60                                // 00000000C0E4: 686E7940
	v_mfma_i32_16x16x32_i8 v[112:115], a[32:33], v[80:81], 0   // 00000000C0E8: D3D70070 0A02A120
	buffer_load_dwordx4 a[0:3], v22, s[16:19], 0 offen         // 00000000C0F0: E05C1000 80840016
	v_mfma_i32_16x16x32_i8 v[112:115], a[34:35], v[82:83], v[112:115]// 00000000C0F8: D3D70070 0DC2A522
	v_mfma_i32_16x16x32_i8 v[112:115], a[36:37], v[84:85], v[112:115]// 00000000C100: D3D70070 0DC2A924
	buffer_load_dword v17, v1, s[24:27], 0 offen               // 00000000C108: E0501000 80061101
	v_mfma_i32_16x16x32_i8 v[112:115], a[38:39], v[86:87], v[112:115]// 00000000C110: D3D70070 0DC2AD26
	v_mfma_i32_16x16x32_i8 v[116:119], a[40:41], v[80:81], 0   // 00000000C118: D3D70074 0A02A128
	buffer_load_dwordx4 a[4:7], v22, s[16:19], 0 offen offset:1024// 00000000C120: E05C1400 80840416
	v_mfma_i32_16x16x32_i8 v[116:119], a[42:43], v[82:83], v[116:119]// 00000000C128: D3D70074 0DD2A52A
	v_mfma_i32_16x16x32_i8 v[116:119], a[44:45], v[84:85], v[116:119]// 00000000C130: D3D70074 0DD2A92C
	v_mfma_i32_16x16x32_i8 v[116:119], a[46:47], v[86:87], v[116:119]// 00000000C138: D3D70074 0DD2AD2E
	v_mfma_i32_16x16x32_i8 v[120:123], a[48:49], v[80:81], 0   // 00000000C140: D3D70078 0A02A130
	buffer_load_dwordx4 a[8:11], v23, s[16:19], 0 offen        // 00000000C148: E05C1000 80840817
	v_mfma_i32_16x16x32_i8 v[120:123], a[50:51], v[82:83], v[120:123]// 00000000C150: D3D70078 0DE2A532
	v_mfma_i32_16x16x32_i8 v[120:123], a[52:53], v[84:85], v[120:123]// 00000000C158: D3D70078 0DE2A934
	v_mfma_i32_16x16x32_i8 v[120:123], a[54:55], v[86:87], v[120:123]// 00000000C160: D3D70078 0DE2AD36
	v_mfma_i32_16x16x32_i8 v[124:127], a[56:57], v[80:81], 0   // 00000000C168: D3D7007C 0A02A138
	buffer_load_dwordx4 a[12:15], v23, s[16:19], 0 offen offset:1024// 00000000C170: E05C1400 80840C17
	v_mfma_i32_16x16x32_i8 v[124:127], a[58:59], v[82:83], v[124:127]// 00000000C178: D3D7007C 0DF2A53A
	v_mfma_i32_16x16x32_i8 v[124:127], a[60:61], v[84:85], v[124:127]// 00000000C180: D3D7007C 0DF2A93C
	v_mfma_i32_16x16x32_i8 v[124:127], a[62:63], v[86:87], v[124:127]// 00000000C188: D3D7007C 0DF2AD3E
	v_mfma_i32_16x16x32_i8 v[128:131], a[32:33], v[88:89], 0   // 00000000C190: D3D70080 0A02B120
	v_mfma_i32_16x16x32_i8 v[128:131], a[34:35], v[90:91], v[128:131]// 00000000C198: D3D70080 0E02B522
	v_mfma_i32_16x16x32_i8 v[128:131], a[36:37], v[92:93], v[128:131]// 00000000C1A0: D3D70080 0E02B924
	v_mfma_i32_16x16x32_i8 v[128:131], a[38:39], v[94:95], v[128:131]// 00000000C1A8: D3D70080 0E02BD26
	v_mfma_i32_16x16x32_i8 v[132:135], a[40:41], v[88:89], 0   // 00000000C1B0: D3D70084 0A02B128
	v_mfma_i32_16x16x32_i8 v[132:135], a[42:43], v[90:91], v[132:135]// 00000000C1B8: D3D70084 0E12B52A
	v_mfma_i32_16x16x32_i8 v[132:135], a[44:45], v[92:93], v[132:135]// 00000000C1C0: D3D70084 0E12B92C
	v_mfma_i32_16x16x32_i8 v[132:135], a[46:47], v[94:95], v[132:135]// 00000000C1C8: D3D70084 0E12BD2E
	v_mfma_i32_16x16x32_i8 v[136:139], a[48:49], v[88:89], 0   // 00000000C1D0: D3D70088 0A02B130
	v_mfma_i32_16x16x32_i8 v[136:139], a[50:51], v[90:91], v[136:139]// 00000000C1D8: D3D70088 0E22B532
	v_mfma_i32_16x16x32_i8 v[136:139], a[52:53], v[92:93], v[136:139]// 00000000C1E0: D3D70088 0E22B934
	v_mfma_i32_16x16x32_i8 v[136:139], a[54:55], v[94:95], v[136:139]// 00000000C1E8: D3D70088 0E22BD36
	v_mfma_i32_16x16x32_i8 v[140:143], a[56:57], v[88:89], 0   // 00000000C1F0: D3D7008C 0A02B138
	v_mfma_i32_16x16x32_i8 v[140:143], a[58:59], v[90:91], v[140:143]// 00000000C1F8: D3D7008C 0E32B53A
	v_mfma_i32_16x16x32_i8 v[140:143], a[60:61], v[92:93], v[140:143]// 00000000C200: D3D7008C 0E32B93C
	v_mfma_i32_16x16x32_i8 v[140:143], a[62:63], v[94:95], v[140:143]// 00000000C208: D3D7008C 0E32BD3E
	buffer_load_dword v42, v2, s[32:35], 0 offen               // 00000000C210: E0501000 80082A02
	v_mov_b32_dpp v64, v43 row_shr:4 row_mask:0xf bank_mask:0xf// 00000000C218: 7E8002FA FF01142B
	v_mov_b32_dpp v65, v43 row_shl:4 row_mask:0xf bank_mask:0xf// 00000000C220: 7E8202FA FF01042B
	v_cndmask_b32_e64 v248, v43, v64, s[44:45]                 // 00000000C228: D10000F8 00B2812B
	v_cndmask_b32_e64 v249, v65, v43, s[44:45]                 // 00000000C230: D10000F9 00B25741
	v_mov_b32_dpp v64, v248 row_shr:8 row_mask:0xf bank_mask:0xf// 00000000C238: 7E8002FA FF0118F8
	v_mov_b32_dpp v65, v248 row_shl:8 row_mask:0xf bank_mask:0xf// 00000000C240: 7E8202FA FF0108F8
	v_mov_b32_dpp v66, v249 row_shr:8 row_mask:0xf bank_mask:0xf// 00000000C248: 7E8402FA FF0118F9
	v_mov_b32_dpp v67, v249 row_shl:8 row_mask:0xf bank_mask:0xf// 00000000C250: 7E8602FA FF0108F9
	v_mov_b32_e32 v68, v248                                    // 00000000C258: 7E8803F8
	v_mov_b32_e32 v69, v249                                    // 00000000C25C: 7E8A03F9
	v_cndmask_b32_e64 v248, v68, v64, s[42:43]                 // 00000000C260: D10000F8 00AA8144
	v_cndmask_b32_e64 v250, v68, v65, s[78:79]                 // 00000000C268: D10000FA 013A8344
	v_cndmask_b32_e64 v249, v69, v66, s[42:43]                 // 00000000C270: D10000F9 00AA8545
	v_cndmask_b32_e64 v251, v69, v67, s[78:79]                 // 00000000C278: D10000FB 013A8745
	v_mov_b32_dpp v64, v58 row_shr:4 row_mask:0xf bank_mask:0xf// 00000000C280: 7E8002FA FF01143A
	v_mov_b32_dpp v65, v58 row_shl:4 row_mask:0xf bank_mask:0xf// 00000000C288: 7E8202FA FF01043A
	v_cndmask_b32_e64 v252, v58, v64, s[44:45]                 // 00000000C290: D10000FC 00B2813A
	v_cndmask_b32_e64 v253, v65, v58, s[44:45]                 // 00000000C298: D10000FD 00B27541
	v_mov_b32_dpp v64, v252 row_shr:8 row_mask:0xf bank_mask:0xf// 00000000C2A0: 7E8002FA FF0118FC
	v_mov_b32_dpp v65, v252 row_shl:8 row_mask:0xf bank_mask:0xf// 00000000C2A8: 7E8202FA FF0108FC
	v_mov_b32_dpp v66, v253 row_shr:8 row_mask:0xf bank_mask:0xf// 00000000C2B0: 7E8402FA FF0118FD
	v_mov_b32_dpp v67, v253 row_shl:8 row_mask:0xf bank_mask:0xf// 00000000C2B8: 7E8602FA FF0108FD
	v_mov_b32_e32 v68, v252                                    // 00000000C2C0: 7E8803FC
	v_mov_b32_e32 v69, v253                                    // 00000000C2C4: 7E8A03FD
	v_cndmask_b32_e64 v252, v68, v64, s[42:43]                 // 00000000C2C8: D10000FC 00AA8144
	v_cndmask_b32_e64 v254, v68, v65, s[78:79]                 // 00000000C2D0: D10000FE 013A8344
	v_cndmask_b32_e64 v253, v69, v66, s[42:43]                 // 00000000C2D8: D10000FD 00AA8545
	v_cndmask_b32_e64 v255, v69, v67, s[78:79]                 // 00000000C2E0: D10000FF 013A8745
	buffer_load_dword v57, v55, s[36:39], 0 offen              // 00000000C2E8: E0501000 80093937
	v_cvt_f32_i32_e32 v112, v112                               // 00000000C2F0: 7EE00B70
	v_cvt_f32_i32_e32 v113, v113                               // 00000000C2F4: 7EE20B71
	v_cvt_f32_i32_e32 v114, v114                               // 00000000C2F8: 7EE40B72
	v_cvt_f32_i32_e32 v115, v115                               // 00000000C2FC: 7EE60B73
	v_cvt_f32_i32_e32 v116, v116                               // 00000000C300: 7EE80B74
	v_cvt_f32_i32_e32 v117, v117                               // 00000000C304: 7EEA0B75
	v_cvt_f32_i32_e32 v118, v118                               // 00000000C308: 7EEC0B76
	v_cvt_f32_i32_e32 v119, v119                               // 00000000C30C: 7EEE0B77
	v_cvt_f32_i32_e32 v120, v120                               // 00000000C310: 7EF00B78
	v_cvt_f32_i32_e32 v121, v121                               // 00000000C314: 7EF20B79
	v_cvt_f32_i32_e32 v122, v122                               // 00000000C318: 7EF40B7A
	v_cvt_f32_i32_e32 v123, v123                               // 00000000C31C: 7EF60B7B
	v_cvt_f32_i32_e32 v124, v124                               // 00000000C320: 7EF80B7C
	v_cvt_f32_i32_e32 v125, v125                               // 00000000C324: 7EFA0B7D
	v_cvt_f32_i32_e32 v126, v126                               // 00000000C328: 7EFC0B7E
	v_cvt_f32_i32_e32 v127, v127                               // 00000000C32C: 7EFE0B7F
	v_mul_f32_e32 v112, v18, v112                              // 00000000C330: 0AE0E112
	v_mul_f32_e32 v113, v18, v113                              // 00000000C334: 0AE2E312
	v_mul_f32_e32 v114, v18, v114                              // 00000000C338: 0AE4E512
	v_mul_f32_e32 v115, v18, v115                              // 00000000C33C: 0AE6E712
	v_mul_f32_e32 v116, v18, v116                              // 00000000C340: 0AE8E912
	v_mul_f32_e32 v117, v18, v117                              // 00000000C344: 0AEAEB12
	v_mul_f32_e32 v118, v18, v118                              // 00000000C348: 0AECED12
	v_mul_f32_e32 v119, v18, v119                              // 00000000C34C: 0AEEEF12
	v_mul_f32_e32 v120, v18, v120                              // 00000000C350: 0AF0F112
	v_mul_f32_e32 v121, v18, v121                              // 00000000C354: 0AF2F312
	v_mul_f32_e32 v122, v18, v122                              // 00000000C358: 0AF4F512
	v_mul_f32_e32 v123, v18, v123                              // 00000000C35C: 0AF6F712
	v_mul_f32_e32 v124, v18, v124                              // 00000000C360: 0AF8F912
	v_mul_f32_e32 v125, v18, v125                              // 00000000C364: 0AFAFB12
	v_mul_f32_e32 v126, v18, v126                              // 00000000C368: 0AFCFD12
	v_mul_f32_e32 v127, v18, v127                              // 00000000C36C: 0AFEFF12
	buffer_load_dwordx4 a[16:19], v24, s[16:19], 0 offen       // 00000000C370: E05C1000 80841018
	v_mul_f32_dpp v112, v248, v112 quad_perm:[0,0,0,0] row_mask:0xf bank_mask:0xf// 00000000C378: 0AE0E0FA FF0000F8
	v_mul_f32_dpp v113, v248, v113 quad_perm:[1,1,1,1] row_mask:0xf bank_mask:0xf// 00000000C380: 0AE2E2FA FF0055F8
	v_mul_f32_dpp v114, v248, v114 quad_perm:[2,2,2,2] row_mask:0xf bank_mask:0xf// 00000000C388: 0AE4E4FA FF00AAF8
	v_mul_f32_dpp v115, v248, v115 quad_perm:[3,3,3,3] row_mask:0xf bank_mask:0xf// 00000000C390: 0AE6E6FA FF00FFF8
	v_mul_f32_dpp v116, v249, v116 quad_perm:[0,0,0,0] row_mask:0xf bank_mask:0xf// 00000000C398: 0AE8E8FA FF0000F9
	v_mul_f32_dpp v117, v249, v117 quad_perm:[1,1,1,1] row_mask:0xf bank_mask:0xf// 00000000C3A0: 0AEAEAFA FF0055F9
	v_mul_f32_dpp v118, v249, v118 quad_perm:[2,2,2,2] row_mask:0xf bank_mask:0xf// 00000000C3A8: 0AECECFA FF00AAF9
	v_mul_f32_dpp v119, v249, v119 quad_perm:[3,3,3,3] row_mask:0xf bank_mask:0xf// 00000000C3B0: 0AEEEEFA FF00FFF9
	v_mul_f32_dpp v120, v250, v120 quad_perm:[0,0,0,0] row_mask:0xf bank_mask:0xf// 00000000C3B8: 0AF0F0FA FF0000FA
	v_mul_f32_dpp v121, v250, v121 quad_perm:[1,1,1,1] row_mask:0xf bank_mask:0xf// 00000000C3C0: 0AF2F2FA FF0055FA
	v_mul_f32_dpp v122, v250, v122 quad_perm:[2,2,2,2] row_mask:0xf bank_mask:0xf// 00000000C3C8: 0AF4F4FA FF00AAFA
	v_mul_f32_dpp v123, v250, v123 quad_perm:[3,3,3,3] row_mask:0xf bank_mask:0xf// 00000000C3D0: 0AF6F6FA FF00FFFA
	v_mul_f32_dpp v124, v251, v124 quad_perm:[0,0,0,0] row_mask:0xf bank_mask:0xf// 00000000C3D8: 0AF8F8FA FF0000FB
	v_mul_f32_dpp v125, v251, v125 quad_perm:[1,1,1,1] row_mask:0xf bank_mask:0xf// 00000000C3E0: 0AFAFAFA FF0055FB
	v_mul_f32_dpp v126, v251, v126 quad_perm:[2,2,2,2] row_mask:0xf bank_mask:0xf// 00000000C3E8: 0AFCFCFA FF00AAFB
	v_mul_f32_dpp v127, v251, v127 quad_perm:[3,3,3,3] row_mask:0xf bank_mask:0xf// 00000000C3F0: 0AFEFEFA FF00FFFB
	buffer_load_dwordx4 a[20:23], v24, s[16:19], 0 offen offset:1024// 00000000C3F8: E05C1400 80841418
	s_cmp_le_i32 s90, s89                                      // 00000000C400: BF05595A
	s_cbranch_scc1 label_28F3                                  // 00000000C404: BF850071
	v_mov_b32_e32 v66, 0xff800000                              // 00000000C408: 7E8402FF FF800000
	s_mov_b32 s60, s90                                         // 00000000C410: BEBC005A
	s_add_u32 s61, s89, 0xff                                   // 00000000C414: 803DFF59 000000FF
	v_mov_b32_e32 v64, s61                                     // 00000000C41C: 7E80023D
	v_lshrrev_b32_e32 v240, 4, v0                              // 00000000C420: 21E00084
	v_mul_i32_i24_e32 v240, 4, v240                            // 00000000C424: 0DE1E084
	v_add_u32_e32 v240, s60, v240                              // 00000000C428: 69E1E03C
	s_mov_b32 s61, 0                                           // 00000000C42C: BEBD0080
	s_mul_i32 s60, 16, s7                                      // 00000000C430: 923C0790
	v_sub_u32_e64 v240, v240, s61                              // 00000000C434: D13500F0 00007BF0
	v_add_u32_e32 v240, s60, v240                              // 00000000C43C: 69E1E03C
	v_add_u32_e32 v241, 1, v240                                // 00000000C440: 69E3E081
	v_add_u32_e32 v242, 2, v240                                // 00000000C444: 69E5E082
	v_add_u32_e32 v243, 3, v240                                // 00000000C448: 69E7E083
	v_cmp_le_u32_e64 s[40:41], v240, v64                       // 00000000C44C: D0CB0028 000281F0
	v_add_u32_e32 v240, 64, v240                               // 00000000C454: 69E1E0C0
	s_nop 0                                                    // 00000000C458: BF800000
	v_cndmask_b32_e64 v112, v66, v112, s[40:41]                // 00000000C45C: D1000070 00A2E142
	v_cmp_le_u32_e64 s[40:41], v241, v64                       // 00000000C464: D0CB0028 000281F1
	v_add_u32_e32 v241, 64, v241                               // 00000000C46C: 69E3E2C0
	s_nop 0                                                    // 00000000C470: BF800000
	v_cndmask_b32_e64 v113, v66, v113, s[40:41]                // 00000000C474: D1000071 00A2E342
	v_cmp_le_u32_e64 s[40:41], v242, v64                       // 00000000C47C: D0CB0028 000281F2
	v_add_u32_e32 v242, 64, v242                               // 00000000C484: 69E5E4C0
	s_nop 0                                                    // 00000000C488: BF800000
	v_cndmask_b32_e64 v114, v66, v114, s[40:41]                // 00000000C48C: D1000072 00A2E542
	v_cmp_le_u32_e64 s[40:41], v243, v64                       // 00000000C494: D0CB0028 000281F3
	v_add_u32_e32 v243, 64, v243                               // 00000000C49C: 69E7E6C0
	s_nop 0                                                    // 00000000C4A0: BF800000
	v_cndmask_b32_e64 v115, v66, v115, s[40:41]                // 00000000C4A4: D1000073 00A2E742
	v_cmp_le_u32_e64 s[40:41], v240, v64                       // 00000000C4AC: D0CB0028 000281F0
	v_add_u32_e32 v240, 64, v240                               // 00000000C4B4: 69E1E0C0
	s_nop 0                                                    // 00000000C4B8: BF800000
	v_cndmask_b32_e64 v116, v66, v116, s[40:41]                // 00000000C4BC: D1000074 00A2E942
	v_cmp_le_u32_e64 s[40:41], v241, v64                       // 00000000C4C4: D0CB0028 000281F1
	v_add_u32_e32 v241, 64, v241                               // 00000000C4CC: 69E3E2C0
	s_nop 0                                                    // 00000000C4D0: BF800000
	v_cndmask_b32_e64 v117, v66, v117, s[40:41]                // 00000000C4D4: D1000075 00A2EB42
	v_cmp_le_u32_e64 s[40:41], v242, v64                       // 00000000C4DC: D0CB0028 000281F2
	v_add_u32_e32 v242, 64, v242                               // 00000000C4E4: 69E5E4C0
	s_nop 0                                                    // 00000000C4E8: BF800000
	v_cndmask_b32_e64 v118, v66, v118, s[40:41]                // 00000000C4EC: D1000076 00A2ED42
	v_cmp_le_u32_e64 s[40:41], v243, v64                       // 00000000C4F4: D0CB0028 000281F3
	v_add_u32_e32 v243, 64, v243                               // 00000000C4FC: 69E7E6C0
	s_nop 0                                                    // 00000000C500: BF800000
	v_cndmask_b32_e64 v119, v66, v119, s[40:41]                // 00000000C504: D1000077 00A2EF42
	v_cmp_le_u32_e64 s[40:41], v240, v64                       // 00000000C50C: D0CB0028 000281F0
	v_add_u32_e32 v240, 64, v240                               // 00000000C514: 69E1E0C0
	s_nop 0                                                    // 00000000C518: BF800000
	v_cndmask_b32_e64 v120, v66, v120, s[40:41]                // 00000000C51C: D1000078 00A2F142
	v_cmp_le_u32_e64 s[40:41], v241, v64                       // 00000000C524: D0CB0028 000281F1
	v_add_u32_e32 v241, 64, v241                               // 00000000C52C: 69E3E2C0
	s_nop 0                                                    // 00000000C530: BF800000
	v_cndmask_b32_e64 v121, v66, v121, s[40:41]                // 00000000C534: D1000079 00A2F342
	v_cmp_le_u32_e64 s[40:41], v242, v64                       // 00000000C53C: D0CB0028 000281F2
	v_add_u32_e32 v242, 64, v242                               // 00000000C544: 69E5E4C0
	s_nop 0                                                    // 00000000C548: BF800000
	v_cndmask_b32_e64 v122, v66, v122, s[40:41]                // 00000000C54C: D100007A 00A2F542
	v_cmp_le_u32_e64 s[40:41], v243, v64                       // 00000000C554: D0CB0028 000281F3
	v_add_u32_e32 v243, 64, v243                               // 00000000C55C: 69E7E6C0
	s_nop 0                                                    // 00000000C560: BF800000
	v_cndmask_b32_e64 v123, v66, v123, s[40:41]                // 00000000C564: D100007B 00A2F742
	v_cmp_le_u32_e64 s[40:41], v240, v64                       // 00000000C56C: D0CB0028 000281F0
	v_add_u32_e32 v240, 64, v240                               // 00000000C574: 69E1E0C0
	s_nop 0                                                    // 00000000C578: BF800000
	v_cndmask_b32_e64 v124, v66, v124, s[40:41]                // 00000000C57C: D100007C 00A2F942
	v_cmp_le_u32_e64 s[40:41], v241, v64                       // 00000000C584: D0CB0028 000281F1
	v_add_u32_e32 v241, 64, v241                               // 00000000C58C: 69E3E2C0
	s_nop 0                                                    // 00000000C590: BF800000
	v_cndmask_b32_e64 v125, v66, v125, s[40:41]                // 00000000C594: D100007D 00A2FB42
	v_cmp_le_u32_e64 s[40:41], v242, v64                       // 00000000C59C: D0CB0028 000281F2
	v_add_u32_e32 v242, 64, v242                               // 00000000C5A4: 69E5E4C0
	s_nop 0                                                    // 00000000C5A8: BF800000
	v_cndmask_b32_e64 v126, v66, v126, s[40:41]                // 00000000C5AC: D100007E 00A2FD42
	v_cmp_le_u32_e64 s[40:41], v243, v64                       // 00000000C5B4: D0CB0028 000281F3
	v_add_u32_e32 v243, 64, v243                               // 00000000C5BC: 69E7E6C0
	s_nop 0                                                    // 00000000C5C0: BF800000
	v_cndmask_b32_e64 v127, v66, v127, s[40:41]                // 00000000C5C4: D100007F 00A2FF42

000000000000c5cc <label_28F3>:
	v_mov_b32_e32 v48, v112                                    // 00000000C5CC: 7E600370
	v_max3_f32 v48, v112, v113, v48                            // 00000000C5D0: D1D30030 04C2E370
	v_max3_f32 v48, v114, v115, v48                            // 00000000C5D8: D1D30030 04C2E772
	v_max3_f32 v48, v116, v117, v48                            // 00000000C5E0: D1D30030 04C2EB74
	v_max3_f32 v48, v118, v119, v48                            // 00000000C5E8: D1D30030 04C2EF76
	v_max3_f32 v48, v120, v121, v48                            // 00000000C5F0: D1D30030 04C2F378
	v_max3_f32 v48, v122, v123, v48                            // 00000000C5F8: D1D30030 04C2F77A
	v_max3_f32 v48, v124, v125, v48                            // 00000000C600: D1D30030 04C2FB7C
	v_max3_f32 v48, v126, v127, v48                            // 00000000C608: D1D30030 04C2FF7E
	ds_write_b32 v8, v48 offset:16896                          // 00000000C610: D81A4200 00003008
	buffer_load_dwordx4 a[24:27], v25, s[16:19], 0 offen       // 00000000C618: E05C1000 80841819
	v_mul_u32_u24_dpp v64, v16, v54 row_newbcast:1 row_mask:0xf bank_mask:0xf// 00000000C620: 10806CFA FF015110
	v_mul_u32_u24_dpp v65, v16, v54 row_newbcast:5 row_mask:0xf bank_mask:0xf// 00000000C628: 10826CFA FF015510
	v_mul_u32_u24_dpp v66, v16, v54 row_newbcast:9 row_mask:0xf bank_mask:0xf// 00000000C630: 10846CFA FF015910
	v_mul_u32_u24_dpp v67, v16, v54 row_newbcast:13 row_mask:0xf bank_mask:0xf// 00000000C638: 10866CFA FF015D10
	v_add_u32_e32 v30, v64, v6                                 // 00000000C640: 683C0D40
	v_add_u32_e32 v31, v65, v6                                 // 00000000C644: 683E0D41
	v_add_u32_e32 v32, v66, v6                                 // 00000000C648: 68400D42
	v_add_u32_e32 v33, v67, v6                                 // 00000000C64C: 68420D43
	v_mul_f32_e32 v208, v49, v208                              // 00000000C650: 0BA1A131
	v_mul_f32_e32 v209, v49, v209                              // 00000000C654: 0BA3A331
	v_mul_f32_e32 v210, v49, v210                              // 00000000C658: 0BA5A531
	v_mul_f32_e32 v211, v49, v211                              // 00000000C65C: 0BA7A731
	v_mul_f32_e32 v212, v49, v212                              // 00000000C660: 0BA9A931
	v_mul_f32_e32 v213, v49, v213                              // 00000000C664: 0BABAB31
	v_mul_f32_e32 v214, v49, v214                              // 00000000C668: 0BADAD31
	v_mul_f32_e32 v215, v49, v215                              // 00000000C66C: 0BAFAF31
	s_waitcnt lgkmcnt(0)                                       // 00000000C670: BF8CC07F
	s_barrier                                                  // 00000000C674: BF8A0000
	ds_read_b32 v64, v7 offset:16896                           // 00000000C678: D86C4200 40000007
	ds_read_b32 v65, v7 offset:16960                           // 00000000C680: D86C4240 41000007
	ds_read_b32 v66, v7 offset:17024                           // 00000000C688: D86C4280 42000007
	ds_read_b32 v67, v7 offset:17088                           // 00000000C690: D86C42C0 43000007
	ds_read_b32 v68, v7 offset:17152                           // 00000000C698: D86C4300 44000007
	ds_read_b32 v69, v7 offset:17216                           // 00000000C6A0: D86C4340 45000007
	ds_read_b32 v70, v7 offset:17280                           // 00000000C6A8: D86C4380 46000007
	ds_read_b32 v71, v7 offset:17344                           // 00000000C6B0: D86C43C0 47000007
	ds_read_b32 v72, v7 offset:17408                           // 00000000C6B8: D86C4400 48000007
	ds_read_b32 v73, v7 offset:17472                           // 00000000C6C0: D86C4440 49000007
	ds_read_b32 v74, v7 offset:17536                           // 00000000C6C8: D86C4480 4A000007
	ds_read_b32 v75, v7 offset:17600                           // 00000000C6D0: D86C44C0 4B000007
	ds_read_b32 v76, v7 offset:17664                           // 00000000C6D8: D86C4500 4C000007
	ds_read_b32 v77, v7 offset:17728                           // 00000000C6E0: D86C4540 4D000007
	ds_read_b32 v78, v7 offset:17792                           // 00000000C6E8: D86C4580 4E000007
	ds_read_b32 v79, v7 offset:17856                           // 00000000C6F0: D86C45C0 4F000007
	buffer_load_dwordx4 a[28:31], v25, s[16:19], 0 offen offset:1024// 00000000C6F8: E05C1400 80841C19
	v_cvt_f32_i32_e32 v176, v176                               // 00000000C700: 7F600BB0
	v_cvt_f32_i32_e32 v177, v177                               // 00000000C704: 7F620BB1
	v_cvt_f32_i32_e32 v178, v178                               // 00000000C708: 7F640BB2
	v_cvt_f32_i32_e32 v179, v179                               // 00000000C70C: 7F660BB3
	v_cvt_f32_i32_e32 v180, v180                               // 00000000C710: 7F680BB4
	v_cvt_f32_i32_e32 v181, v181                               // 00000000C714: 7F6A0BB5
	v_cvt_f32_i32_e32 v182, v182                               // 00000000C718: 7F6C0BB6
	v_cvt_f32_i32_e32 v183, v183                               // 00000000C71C: 7F6E0BB7
	v_mul_f32_e32 v176, v44, v176                              // 00000000C720: 0B61612C
	v_mul_f32_e32 v177, v44, v177                              // 00000000C724: 0B63632C
	v_mul_f32_e32 v178, v44, v178                              // 00000000C728: 0B65652C
	v_mul_f32_e32 v179, v44, v179                              // 00000000C72C: 0B67672C
	v_mul_f32_e32 v180, v44, v180                              // 00000000C730: 0B69692C
	v_mul_f32_e32 v181, v44, v181                              // 00000000C734: 0B6B6B2C
	v_mul_f32_e32 v182, v44, v182                              // 00000000C738: 0B6D6D2C
	v_mul_f32_e32 v183, v44, v183                              // 00000000C73C: 0B6F6F2C
	s_waitcnt lgkmcnt(0)                                       // 00000000C740: BF8CC07F
	v_max3_f32 v48, v64, v65, v48                              // 00000000C744: D1D30030 04C28340
	v_max3_f32 v48, v66, v67, v48                              // 00000000C74C: D1D30030 04C28742
	v_max3_f32 v48, v68, v69, v48                              // 00000000C754: D1D30030 04C28B44
	v_max3_f32 v48, v70, v71, v48                              // 00000000C75C: D1D30030 04C28F46
	v_max3_f32 v48, v72, v73, v48                              // 00000000C764: D1D30030 04C29348
	v_max3_f32 v48, v74, v75, v48                              // 00000000C76C: D1D30030 04C2974A
	v_max3_f32 v48, v76, v77, v48                              // 00000000C774: D1D30030 04C29B4C
	v_max3_f32 v48, v78, v79, v48                              // 00000000C77C: D1D30030 04C29F4E
	buffer_load_dwordx4 a[64:67], v30, s[20:23], 0 offen       // 00000000C784: E05C1000 8085401E
	v_mov_b32_e32 v64, 0xff800000                              // 00000000C78C: 7E8002FF FF800000
	v_cmp_eq_u32_e64 s[40:41], v64, v11                        // 00000000C794: D0CA0028 00021740
	s_nop 1                                                    // 00000000C79C: BF800001
	v_max_f32_e32 v15, v48, v11                                // 00000000C7A0: 161E1730
	v_mul_f32_e32 v53, s64, v15                                // 00000000C7A4: 0A6A1E40
	v_fma_f32 v112, v112, s64, -v53                            // 00000000C7A8: D1CB0070 84D48170
	v_fma_f32 v113, v113, s64, -v53                            // 00000000C7B0: D1CB0071 84D48171
	v_fma_f32 v114, v114, s64, -v53                            // 00000000C7B8: D1CB0072 84D48172
	v_fma_f32 v115, v115, s64, -v53                            // 00000000C7C0: D1CB0073 84D48173
	v_fma_f32 v116, v116, s64, -v53                            // 00000000C7C8: D1CB0074 84D48174
	v_fma_f32 v117, v117, s64, -v53                            // 00000000C7D0: D1CB0075 84D48175
	v_fma_f32 v118, v118, s64, -v53                            // 00000000C7D8: D1CB0076 84D48176
	v_fma_f32 v119, v119, s64, -v53                            // 00000000C7E0: D1CB0077 84D48177
	v_fma_f32 v120, v120, s64, -v53                            // 00000000C7E8: D1CB0078 84D48178
	v_fma_f32 v121, v121, s64, -v53                            // 00000000C7F0: D1CB0079 84D48179
	v_fma_f32 v122, v122, s64, -v53                            // 00000000C7F8: D1CB007A 84D4817A
	v_fma_f32 v123, v123, s64, -v53                            // 00000000C800: D1CB007B 84D4817B
	v_fma_f32 v124, v124, s64, -v53                            // 00000000C808: D1CB007C 84D4817C
	v_fma_f32 v125, v125, s64, -v53                            // 00000000C810: D1CB007D 84D4817D
	v_fma_f32 v126, v126, s64, -v53                            // 00000000C818: D1CB007E 84D4817E
	v_fma_f32 v127, v127, s64, -v53                            // 00000000C820: D1CB007F 84D4817F
	buffer_load_dwordx4 a[68:71], v31, s[20:23], 0 offen       // 00000000C828: E05C1000 8085441F
	v_exp_f32_e32 v112, v112                                   // 00000000C830: 7EE04170
	v_exp_f32_e32 v113, v113                                   // 00000000C834: 7EE24171
	v_exp_f32_e32 v114, v114                                   // 00000000C838: 7EE44172
	v_exp_f32_e32 v115, v115                                   // 00000000C83C: 7EE64173
	v_exp_f32_e32 v116, v116                                   // 00000000C840: 7EE84174
	v_exp_f32_e32 v117, v117                                   // 00000000C844: 7EEA4175
	v_exp_f32_e32 v118, v118                                   // 00000000C848: 7EEC4176
	v_exp_f32_e32 v119, v119                                   // 00000000C84C: 7EEE4177
	v_exp_f32_e32 v120, v120                                   // 00000000C850: 7EF04178
	v_exp_f32_e32 v121, v121                                   // 00000000C854: 7EF24179
	v_exp_f32_e32 v122, v122                                   // 00000000C858: 7EF4417A
	v_exp_f32_e32 v123, v123                                   // 00000000C85C: 7EF6417B
	v_exp_f32_e32 v124, v124                                   // 00000000C860: 7EF8417C
	v_exp_f32_e32 v125, v125                                   // 00000000C864: 7EFA417D
	v_exp_f32_e32 v126, v126                                   // 00000000C868: 7EFC417E
	v_exp_f32_e32 v127, v127                                   // 00000000C86C: 7EFE417F
	buffer_load_dwordx4 a[72:75], v32, s[20:23], 0 offen       // 00000000C870: E05C1000 80854820
	v_mul_f32_dpp v240, v252, v112 quad_perm:[0,0,0,0] row_mask:0xf bank_mask:0xf// 00000000C878: 0BE0E0FA FF0000FC
	v_mul_f32_dpp v241, v252, v113 quad_perm:[1,1,1,1] row_mask:0xf bank_mask:0xf// 00000000C880: 0BE2E2FA FF0055FC
	v_mul_f32_dpp v242, v252, v114 quad_perm:[2,2,2,2] row_mask:0xf bank_mask:0xf// 00000000C888: 0BE4E4FA FF00AAFC
	v_mul_f32_dpp v243, v252, v115 quad_perm:[3,3,3,3] row_mask:0xf bank_mask:0xf// 00000000C890: 0BE6E6FA FF00FFFC
	v_mul_f32_dpp v244, v253, v116 quad_perm:[0,0,0,0] row_mask:0xf bank_mask:0xf// 00000000C898: 0BE8E8FA FF0000FD
	v_mul_f32_dpp v245, v253, v117 quad_perm:[1,1,1,1] row_mask:0xf bank_mask:0xf// 00000000C8A0: 0BEAEAFA FF0055FD
	v_mul_f32_dpp v246, v253, v118 quad_perm:[2,2,2,2] row_mask:0xf bank_mask:0xf// 00000000C8A8: 0BECECFA FF00AAFD
	v_mul_f32_dpp v247, v253, v119 quad_perm:[3,3,3,3] row_mask:0xf bank_mask:0xf// 00000000C8B0: 0BEEEEFA FF00FFFD
	v_mul_f32_dpp v248, v254, v120 quad_perm:[0,0,0,0] row_mask:0xf bank_mask:0xf// 00000000C8B8: 0BF0F0FA FF0000FE
	v_mul_f32_dpp v249, v254, v121 quad_perm:[1,1,1,1] row_mask:0xf bank_mask:0xf// 00000000C8C0: 0BF2F2FA FF0055FE
	v_mul_f32_dpp v250, v254, v122 quad_perm:[2,2,2,2] row_mask:0xf bank_mask:0xf// 00000000C8C8: 0BF4F4FA FF00AAFE
	v_mul_f32_dpp v251, v254, v123 quad_perm:[3,3,3,3] row_mask:0xf bank_mask:0xf// 00000000C8D0: 0BF6F6FA FF00FFFE
	v_mul_f32_dpp v252, v255, v124 quad_perm:[0,0,0,0] row_mask:0xf bank_mask:0xf// 00000000C8D8: 0BF8F8FA FF0000FF
	v_mul_f32_dpp v253, v255, v125 quad_perm:[1,1,1,1] row_mask:0xf bank_mask:0xf// 00000000C8E0: 0BFAFAFA FF0055FF
	v_mul_f32_dpp v254, v255, v126 quad_perm:[2,2,2,2] row_mask:0xf bank_mask:0xf// 00000000C8E8: 0BFCFCFA FF00AAFF
	v_mul_f32_dpp v255, v255, v127 quad_perm:[3,3,3,3] row_mask:0xf bank_mask:0xf// 00000000C8F0: 0BFEFEFA FF00FFFF
	v_mov_b32_e32 v48, 0x358637bd                              // 00000000C8F8: 7E6002FF 358637BD
	v_max3_f32 v48, |v240|, |v241|, v48                        // 00000000C900: D1D30330 04C3E3F0
	v_max3_f32 v48, |v242|, |v243|, v48                        // 00000000C908: D1D30330 04C3E7F2
	v_max3_f32 v48, |v244|, |v245|, v48                        // 00000000C910: D1D30330 04C3EBF4
	v_max3_f32 v48, |v246|, |v247|, v48                        // 00000000C918: D1D30330 04C3EFF6
	v_max3_f32 v48, |v248|, |v249|, v48                        // 00000000C920: D1D30330 04C3F3F8
	v_max3_f32 v48, |v250|, |v251|, v48                        // 00000000C928: D1D30330 04C3F7FA
	v_max3_f32 v48, |v252|, |v253|, v48                        // 00000000C930: D1D30330 04C3FBFC
	v_max3_f32 v48, |v254|, |v255|, v48                        // 00000000C938: D1D30330 04C3FFFE
	buffer_load_dwordx4 a[76:79], v33, s[20:23], 0 offen       // 00000000C940: E05C1000 80854C21
	ds_write_b32 v8, v48 offset:20992                          // 00000000C948: D81A5200 00003008
	v_sub_f32_e32 v49, v11, v15                                // 00000000C950: 04621F0B
	v_cndmask_b32_e64 v49, v49, 0, s[40:41]                    // 00000000C954: D1000031 00A10131
	v_mov_b32_e32 v11, v15                                     // 00000000C95C: 7E16030F
	v_mul_f32_e32 v49, s64, v49                                // 00000000C960: 0A626240
	v_exp_f32_e32 v49, v49                                     // 00000000C964: 7E624131
	s_waitcnt lgkmcnt(0)                                       // 00000000C968: BF8CC07F
	s_barrier                                                  // 00000000C96C: BF8A0000
	ds_read_b32 v64, v7 offset:20992                           // 00000000C970: D86C5200 40000007
	ds_read_b32 v65, v7 offset:21056                           // 00000000C978: D86C5240 41000007
	ds_read_b32 v66, v7 offset:21120                           // 00000000C980: D86C5280 42000007
	ds_read_b32 v67, v7 offset:21184                           // 00000000C988: D86C52C0 43000007
	ds_read_b32 v68, v7 offset:21248                           // 00000000C990: D86C5300 44000007
	ds_read_b32 v69, v7 offset:21312                           // 00000000C998: D86C5340 45000007
	ds_read_b32 v70, v7 offset:21376                           // 00000000C9A0: D86C5380 46000007
	ds_read_b32 v71, v7 offset:21440                           // 00000000C9A8: D86C53C0 47000007
	ds_read_b32 v72, v7 offset:21504                           // 00000000C9B0: D86C5400 48000007
	ds_read_b32 v73, v7 offset:21568                           // 00000000C9B8: D86C5440 49000007
	ds_read_b32 v74, v7 offset:21632                           // 00000000C9C0: D86C5480 4A000007
	ds_read_b32 v75, v7 offset:21696                           // 00000000C9C8: D86C54C0 4B000007
	ds_read_b32 v76, v7 offset:21760                           // 00000000C9D0: D86C5500 4C000007
	ds_read_b32 v77, v7 offset:21824                           // 00000000C9D8: D86C5540 4D000007
	ds_read_b32 v78, v7 offset:21888                           // 00000000C9E0: D86C5580 4E000007
	ds_read_b32 v79, v7 offset:21952                           // 00000000C9E8: D86C55C0 4F000007
	v_mul_f32_e32 v38, v49, v38                                // 00000000C9F0: 0A4C4D31
	v_mov_b32_e32 v15, v112                                    // 00000000C9F4: 7E1E0370
	v_add_f32_e32 v15, v113, v15                               // 00000000C9F8: 021E1F71
	v_add_f32_e32 v15, v114, v15                               // 00000000C9FC: 021E1F72
	v_add_f32_e32 v15, v115, v15                               // 00000000CA00: 021E1F73
	v_add_f32_e32 v15, v116, v15                               // 00000000CA04: 021E1F74
	v_add_f32_e32 v15, v117, v15                               // 00000000CA08: 021E1F75
	v_add_f32_e32 v15, v118, v15                               // 00000000CA0C: 021E1F76
	v_add_f32_e32 v15, v119, v15                               // 00000000CA10: 021E1F77
	v_add_f32_e32 v15, v120, v15                               // 00000000CA14: 021E1F78
	v_add_f32_e32 v15, v121, v15                               // 00000000CA18: 021E1F79
	v_add_f32_e32 v15, v122, v15                               // 00000000CA1C: 021E1F7A
	v_add_f32_e32 v15, v123, v15                               // 00000000CA20: 021E1F7B
	v_add_f32_e32 v15, v124, v15                               // 00000000CA24: 021E1F7C
	v_add_f32_e32 v15, v125, v15                               // 00000000CA28: 021E1F7D
	v_add_f32_e32 v15, v126, v15                               // 00000000CA2C: 021E1F7E
	v_add_f32_e32 v15, v127, v15                               // 00000000CA30: 021E1F7F
	v_add_f32_e32 v38, v15, v38                                // 00000000CA34: 024C4D0F
	s_waitcnt lgkmcnt(0)                                       // 00000000CA38: BF8CC07F
	v_max3_f32 v48, |v64|, |v65|, v48                          // 00000000CA3C: D1D30330 04C28340
	v_max3_f32 v48, |v66|, |v67|, v48                          // 00000000CA44: D1D30330 04C28742
	v_max3_f32 v48, |v68|, |v69|, v48                          // 00000000CA4C: D1D30330 04C28B44
	v_max3_f32 v48, |v70|, |v71|, v48                          // 00000000CA54: D1D30330 04C28F46
	v_max3_f32 v48, |v72|, |v73|, v48                          // 00000000CA5C: D1D30330 04C29348
	v_max3_f32 v48, |v74|, |v75|, v48                          // 00000000CA64: D1D30330 04C2974A
	v_max3_f32 v48, |v76|, |v77|, v48                          // 00000000CA6C: D1D30330 04C29B4C
	v_max3_f32 v48, |v78|, |v79|, v48                          // 00000000CA74: D1D30330 04C29F4E
	s_nop 2                                                    // 00000000CA7C: BF800002
	v_rcp_f32_e32 v48, v48                                     // 00000000CA80: 7E604530
	s_nop 1                                                    // 00000000CA84: BF800001
	v_mul_f32_e32 v48, 0x42fe0000, v48                         // 00000000CA88: 0A6060FF 42FE0000
	v_mul_f32_e32 v112, v48, v240                              // 00000000CA90: 0AE1E130
	v_mul_f32_e32 v113, v48, v241                              // 00000000CA94: 0AE3E330
	v_mul_f32_e32 v114, v48, v242                              // 00000000CA98: 0AE5E530
	v_mul_f32_e32 v115, v48, v243                              // 00000000CA9C: 0AE7E730
	v_mul_f32_e32 v116, v48, v244                              // 00000000CAA0: 0AE9E930
	v_mul_f32_e32 v117, v48, v245                              // 00000000CAA4: 0AEBEB30
	v_mul_f32_e32 v118, v48, v246                              // 00000000CAA8: 0AEDED30
	v_mul_f32_e32 v119, v48, v247                              // 00000000CAAC: 0AEFEF30
	v_mul_f32_e32 v120, v48, v248                              // 00000000CAB0: 0AF1F130
	v_mul_f32_e32 v121, v48, v249                              // 00000000CAB4: 0AF3F330
	v_mul_f32_e32 v122, v48, v250                              // 00000000CAB8: 0AF5F530
	v_mul_f32_e32 v123, v48, v251                              // 00000000CABC: 0AF7F730
	v_mul_f32_e32 v124, v48, v252                              // 00000000CAC0: 0AF9F930
	v_mul_f32_e32 v125, v48, v253                              // 00000000CAC4: 0AFBFB30
	v_mul_f32_e32 v126, v48, v254                              // 00000000CAC8: 0AFDFD30
	v_mul_f32_e32 v127, v48, v255                              // 00000000CACC: 0AFFFF30
	v_cvt_i32_f32_e32 v112, v112                               // 00000000CAD0: 7EE01170
	v_cvt_i32_f32_e32 v113, v113                               // 00000000CAD4: 7EE21171
	v_cvt_i32_f32_e32 v114, v114                               // 00000000CAD8: 7EE41172
	v_cvt_i32_f32_e32 v115, v115                               // 00000000CADC: 7EE61173
	v_cvt_i32_f32_e32 v116, v116                               // 00000000CAE0: 7EE81174
	v_cvt_i32_f32_e32 v117, v117                               // 00000000CAE4: 7EEA1175
	v_cvt_i32_f32_e32 v118, v118                               // 00000000CAE8: 7EEC1176
	v_cvt_i32_f32_e32 v119, v119                               // 00000000CAEC: 7EEE1177
	v_cvt_i32_f32_e32 v120, v120                               // 00000000CAF0: 7EF01178
	v_cvt_i32_f32_e32 v121, v121                               // 00000000CAF4: 7EF21179
	v_cvt_i32_f32_e32 v122, v122                               // 00000000CAF8: 7EF4117A
	v_cvt_i32_f32_e32 v123, v123                               // 00000000CAFC: 7EF6117B
	v_cvt_i32_f32_e32 v124, v124                               // 00000000CB00: 7EF8117C
	v_cvt_i32_f32_e32 v125, v125                               // 00000000CB04: 7EFA117D
	v_cvt_i32_f32_e32 v126, v126                               // 00000000CB08: 7EFC117E
	v_cvt_i32_f32_e32 v127, v127                               // 00000000CB0C: 7EFE117F
	v_perm_b32 v112, v113, v112, s53                           // 00000000CB10: D1ED0070 00D6E171
	v_perm_b32 v112, v114, v112, s54                           // 00000000CB18: D1ED0070 00DAE172
	v_perm_b32 v112, v115, v112, s55                           // 00000000CB20: D1ED0070 00DEE173
	v_perm_b32 v113, v117, v116, s53                           // 00000000CB28: D1ED0071 00D6E975
	v_perm_b32 v113, v118, v113, s54                           // 00000000CB30: D1ED0071 00DAE376
	v_perm_b32 v113, v119, v113, s55                           // 00000000CB38: D1ED0071 00DEE377
	v_perm_b32 v114, v121, v120, s53                           // 00000000CB40: D1ED0072 00D6F179
	v_perm_b32 v114, v122, v114, s54                           // 00000000CB48: D1ED0072 00DAE57A
	v_perm_b32 v114, v123, v114, s55                           // 00000000CB50: D1ED0072 00DEE57B
	v_perm_b32 v115, v125, v124, s53                           // 00000000CB58: D1ED0073 00D6F97D
	v_perm_b32 v115, v126, v115, s54                           // 00000000CB60: D1ED0073 00DAE77E
	v_perm_b32 v115, v127, v115, s55                           // 00000000CB68: D1ED0073 00DEE77F
	ds_write_b32 v10, v112 offset:25088                        // 00000000CB70: D81A6200 0000700A
	ds_write_b32 v10, v113 offset:26112                        // 00000000CB78: D81A6600 0000710A
	ds_write_b32 v10, v114 offset:27136                        // 00000000CB80: D81A6A00 0000720A
	ds_write_b32 v10, v115 offset:28160                        // 00000000CB88: D81A6E00 0000730A
	v_add_f32_e32 v208, v208, v176                             // 00000000CB90: 03A161D0
	v_add_f32_e32 v209, v209, v177                             // 00000000CB94: 03A363D1
	v_add_f32_e32 v210, v210, v178                             // 00000000CB98: 03A565D2
	v_add_f32_e32 v211, v211, v179                             // 00000000CB9C: 03A767D3
	v_add_f32_e32 v212, v212, v180                             // 00000000CBA0: 03A969D4
	v_add_f32_e32 v213, v213, v181                             // 00000000CBA4: 03AB6BD5
	v_add_f32_e32 v214, v214, v182                             // 00000000CBA8: 03AD6DD6
	v_add_f32_e32 v215, v215, v183                             // 00000000CBAC: 03AF6FD7
	v_rcp_f32_e32 v44, v48                                     // 00000000CBB0: 7E584530
	s_waitcnt lgkmcnt(0)                                       // 00000000CBB4: BF8CC07F
	s_barrier                                                  // 00000000CBB8: BF8A0000
	ds_read_b64 v[112:113], v9 offset:25088                    // 00000000CBBC: D8EC6200 70000009
	ds_read_b64 v[114:115], v9 offset:25216                    // 00000000CBC4: D8EC6280 72000009
	ds_read_b64 v[116:117], v9 offset:26112                    // 00000000CBCC: D8EC6600 74000009
	ds_read_b64 v[118:119], v9 offset:26240                    // 00000000CBD4: D8EC6680 76000009
	ds_read_b64 v[120:121], v9 offset:27136                    // 00000000CBDC: D8EC6A00 78000009
	ds_read_b64 v[122:123], v9 offset:27264                    // 00000000CBE4: D8EC6A80 7A000009
	ds_read_b64 v[124:125], v9 offset:28160                    // 00000000CBEC: D8EC6E00 7C000009
	ds_read_b64 v[126:127], v9 offset:28288                    // 00000000CBF4: D8EC6E80 7E000009
	v_mov_b32_dpp v64, v43 row_shr:4 row_mask:0xf bank_mask:0xf// 00000000CBFC: 7E8002FA FF01142B
	v_mov_b32_dpp v65, v43 row_shl:4 row_mask:0xf bank_mask:0xf// 00000000CC04: 7E8202FA FF01042B
	v_cndmask_b32_e64 v248, v43, v64, s[44:45]                 // 00000000CC0C: D10000F8 00B2812B
	v_cndmask_b32_e64 v249, v65, v43, s[44:45]                 // 00000000CC14: D10000F9 00B25741
	v_mov_b32_dpp v64, v248 row_shr:8 row_mask:0xf bank_mask:0xf// 00000000CC1C: 7E8002FA FF0118F8
	v_mov_b32_dpp v65, v248 row_shl:8 row_mask:0xf bank_mask:0xf// 00000000CC24: 7E8202FA FF0108F8
	v_mov_b32_dpp v66, v249 row_shr:8 row_mask:0xf bank_mask:0xf// 00000000CC2C: 7E8402FA FF0118F9
	v_mov_b32_dpp v67, v249 row_shl:8 row_mask:0xf bank_mask:0xf// 00000000CC34: 7E8602FA FF0108F9
	v_mov_b32_e32 v68, v248                                    // 00000000CC3C: 7E8803F8
	v_mov_b32_e32 v69, v249                                    // 00000000CC40: 7E8A03F9
	v_cndmask_b32_e64 v248, v68, v64, s[42:43]                 // 00000000CC44: D10000F8 00AA8144
	v_cndmask_b32_e64 v250, v68, v65, s[78:79]                 // 00000000CC4C: D10000FA 013A8344
	v_cndmask_b32_e64 v249, v69, v66, s[42:43]                 // 00000000CC54: D10000F9 00AA8545
	v_cndmask_b32_e64 v251, v69, v67, s[78:79]                 // 00000000CC5C: D10000FB 013A8745
	v_mov_b32_dpp v64, v58 row_shr:4 row_mask:0xf bank_mask:0xf// 00000000CC64: 7E8002FA FF01143A
	v_mov_b32_dpp v65, v58 row_shl:4 row_mask:0xf bank_mask:0xf// 00000000CC6C: 7E8202FA FF01043A
	v_cndmask_b32_e64 v252, v58, v64, s[44:45]                 // 00000000CC74: D10000FC 00B2813A
	v_cndmask_b32_e64 v253, v65, v58, s[44:45]                 // 00000000CC7C: D10000FD 00B27541
	v_mov_b32_dpp v64, v252 row_shr:8 row_mask:0xf bank_mask:0xf// 00000000CC84: 7E8002FA FF0118FC
	v_mov_b32_dpp v65, v252 row_shl:8 row_mask:0xf bank_mask:0xf// 00000000CC8C: 7E8202FA FF0108FC
	v_mov_b32_dpp v66, v253 row_shr:8 row_mask:0xf bank_mask:0xf// 00000000CC94: 7E8402FA FF0118FD
	v_mov_b32_dpp v67, v253 row_shl:8 row_mask:0xf bank_mask:0xf// 00000000CC9C: 7E8602FA FF0108FD
	v_mov_b32_e32 v68, v252                                    // 00000000CCA4: 7E8803FC
	v_mov_b32_e32 v69, v253                                    // 00000000CCA8: 7E8A03FD
	v_cndmask_b32_e64 v252, v68, v64, s[42:43]                 // 00000000CCAC: D10000FC 00AA8144
	v_cndmask_b32_e64 v254, v68, v65, s[78:79]                 // 00000000CCB4: D10000FE 013A8344
	v_cndmask_b32_e64 v253, v69, v66, s[42:43]                 // 00000000CCBC: D10000FD 00AA8545
	v_cndmask_b32_e64 v255, v69, v67, s[78:79]                 // 00000000CCC4: D10000FF 013A8745
	v_cvt_f32_i32_e32 v128, v128                               // 00000000CCCC: 7F000B80
	v_cvt_f32_i32_e32 v129, v129                               // 00000000CCD0: 7F020B81
	v_cvt_f32_i32_e32 v130, v130                               // 00000000CCD4: 7F040B82
	v_cvt_f32_i32_e32 v131, v131                               // 00000000CCD8: 7F060B83
	v_cvt_f32_i32_e32 v132, v132                               // 00000000CCDC: 7F080B84
	v_cvt_f32_i32_e32 v133, v133                               // 00000000CCE0: 7F0A0B85
	v_cvt_f32_i32_e32 v134, v134                               // 00000000CCE4: 7F0C0B86
	v_cvt_f32_i32_e32 v135, v135                               // 00000000CCE8: 7F0E0B87
	v_cvt_f32_i32_e32 v136, v136                               // 00000000CCEC: 7F100B88
	v_cvt_f32_i32_e32 v137, v137                               // 00000000CCF0: 7F120B89
	v_cvt_f32_i32_e32 v138, v138                               // 00000000CCF4: 7F140B8A
	v_cvt_f32_i32_e32 v139, v139                               // 00000000CCF8: 7F160B8B
	v_cvt_f32_i32_e32 v140, v140                               // 00000000CCFC: 7F180B8C
	v_cvt_f32_i32_e32 v141, v141                               // 00000000CD00: 7F1A0B8D
	v_cvt_f32_i32_e32 v142, v142                               // 00000000CD04: 7F1C0B8E
	v_cvt_f32_i32_e32 v143, v143                               // 00000000CD08: 7F1E0B8F
	v_mul_f32_e32 v128, v19, v128                              // 00000000CD0C: 0B010113
	v_mul_f32_e32 v129, v19, v129                              // 00000000CD10: 0B030313
	v_mul_f32_e32 v130, v19, v130                              // 00000000CD14: 0B050513
	v_mul_f32_e32 v131, v19, v131                              // 00000000CD18: 0B070713
	v_mul_f32_e32 v132, v19, v132                              // 00000000CD1C: 0B090913
	v_mul_f32_e32 v133, v19, v133                              // 00000000CD20: 0B0B0B13
	v_mul_f32_e32 v134, v19, v134                              // 00000000CD24: 0B0D0D13
	v_mul_f32_e32 v135, v19, v135                              // 00000000CD28: 0B0F0F13
	v_mul_f32_e32 v136, v19, v136                              // 00000000CD2C: 0B111113
	v_mul_f32_e32 v137, v19, v137                              // 00000000CD30: 0B131313
	v_mul_f32_e32 v138, v19, v138                              // 00000000CD34: 0B151513
	v_mul_f32_e32 v139, v19, v139                              // 00000000CD38: 0B171713
	v_mul_f32_e32 v140, v19, v140                              // 00000000CD3C: 0B191913
	v_mul_f32_e32 v141, v19, v141                              // 00000000CD40: 0B1B1B13
	v_mul_f32_e32 v142, v19, v142                              // 00000000CD44: 0B1D1D13
	v_mul_f32_e32 v143, v19, v143                              // 00000000CD48: 0B1F1F13
	v_mul_f32_dpp v128, v248, v128 quad_perm:[0,0,0,0] row_mask:0xf bank_mask:0xf// 00000000CD4C: 0B0100FA FF0000F8
	v_mul_f32_dpp v129, v248, v129 quad_perm:[1,1,1,1] row_mask:0xf bank_mask:0xf// 00000000CD54: 0B0302FA FF0055F8
	v_mul_f32_dpp v130, v248, v130 quad_perm:[2,2,2,2] row_mask:0xf bank_mask:0xf// 00000000CD5C: 0B0504FA FF00AAF8
	v_mul_f32_dpp v131, v248, v131 quad_perm:[3,3,3,3] row_mask:0xf bank_mask:0xf// 00000000CD64: 0B0706FA FF00FFF8
	v_mul_f32_dpp v132, v249, v132 quad_perm:[0,0,0,0] row_mask:0xf bank_mask:0xf// 00000000CD6C: 0B0908FA FF0000F9
	v_mul_f32_dpp v133, v249, v133 quad_perm:[1,1,1,1] row_mask:0xf bank_mask:0xf// 00000000CD74: 0B0B0AFA FF0055F9
	v_mul_f32_dpp v134, v249, v134 quad_perm:[2,2,2,2] row_mask:0xf bank_mask:0xf// 00000000CD7C: 0B0D0CFA FF00AAF9
	v_mul_f32_dpp v135, v249, v135 quad_perm:[3,3,3,3] row_mask:0xf bank_mask:0xf// 00000000CD84: 0B0F0EFA FF00FFF9
	v_mul_f32_dpp v136, v250, v136 quad_perm:[0,0,0,0] row_mask:0xf bank_mask:0xf// 00000000CD8C: 0B1110FA FF0000FA
	v_mul_f32_dpp v137, v250, v137 quad_perm:[1,1,1,1] row_mask:0xf bank_mask:0xf// 00000000CD94: 0B1312FA FF0055FA
	v_mul_f32_dpp v138, v250, v138 quad_perm:[2,2,2,2] row_mask:0xf bank_mask:0xf// 00000000CD9C: 0B1514FA FF00AAFA
	v_mul_f32_dpp v139, v250, v139 quad_perm:[3,3,3,3] row_mask:0xf bank_mask:0xf// 00000000CDA4: 0B1716FA FF00FFFA
	v_mul_f32_dpp v140, v251, v140 quad_perm:[0,0,0,0] row_mask:0xf bank_mask:0xf// 00000000CDAC: 0B1918FA FF0000FB
	v_mul_f32_dpp v141, v251, v141 quad_perm:[1,1,1,1] row_mask:0xf bank_mask:0xf// 00000000CDB4: 0B1B1AFA FF0055FB
	v_mul_f32_dpp v142, v251, v142 quad_perm:[2,2,2,2] row_mask:0xf bank_mask:0xf// 00000000CDBC: 0B1D1CFA FF00AAFB
	v_mul_f32_dpp v143, v251, v143 quad_perm:[3,3,3,3] row_mask:0xf bank_mask:0xf// 00000000CDC4: 0B1F1EFA FF00FFFB
	s_cmp_le_i32 s90, s89                                      // 00000000CDCC: BF05595A
	s_cbranch_scc1 label_2B66                                  // 00000000CDD0: BF850071
	v_mov_b32_e32 v66, 0xff800000                              // 00000000CDD4: 7E8402FF FF800000
	s_mov_b32 s60, s90                                         // 00000000CDDC: BEBC005A
	s_add_u32 s61, s89, 0xff                                   // 00000000CDE0: 803DFF59 000000FF
	v_mov_b32_e32 v64, s61                                     // 00000000CDE8: 7E80023D
	v_lshrrev_b32_e32 v240, 4, v0                              // 00000000CDEC: 21E00084
	v_mul_i32_i24_e32 v240, 4, v240                            // 00000000CDF0: 0DE1E084
	v_add_u32_e32 v240, s60, v240                              // 00000000CDF4: 69E1E03C
	s_mov_b32 s61, 1                                           // 00000000CDF8: BEBD0081
	s_mul_i32 s60, 16, s7                                      // 00000000CDFC: 923C0790
	v_sub_u32_e64 v240, v240, s61                              // 00000000CE00: D13500F0 00007BF0
	v_add_u32_e32 v240, s60, v240                              // 00000000CE08: 69E1E03C
	v_add_u32_e32 v241, 1, v240                                // 00000000CE0C: 69E3E081
	v_add_u32_e32 v242, 2, v240                                // 00000000CE10: 69E5E082
	v_add_u32_e32 v243, 3, v240                                // 00000000CE14: 69E7E083
	v_cmp_le_u32_e64 s[40:41], v240, v64                       // 00000000CE18: D0CB0028 000281F0
	v_add_u32_e32 v240, 64, v240                               // 00000000CE20: 69E1E0C0
	s_nop 0                                                    // 00000000CE24: BF800000
	v_cndmask_b32_e64 v128, v66, v128, s[40:41]                // 00000000CE28: D1000080 00A30142
	v_cmp_le_u32_e64 s[40:41], v241, v64                       // 00000000CE30: D0CB0028 000281F1
	v_add_u32_e32 v241, 64, v241                               // 00000000CE38: 69E3E2C0
	s_nop 0                                                    // 00000000CE3C: BF800000
	v_cndmask_b32_e64 v129, v66, v129, s[40:41]                // 00000000CE40: D1000081 00A30342
	v_cmp_le_u32_e64 s[40:41], v242, v64                       // 00000000CE48: D0CB0028 000281F2
	v_add_u32_e32 v242, 64, v242                               // 00000000CE50: 69E5E4C0
	s_nop 0                                                    // 00000000CE54: BF800000
	v_cndmask_b32_e64 v130, v66, v130, s[40:41]                // 00000000CE58: D1000082 00A30542
	v_cmp_le_u32_e64 s[40:41], v243, v64                       // 00000000CE60: D0CB0028 000281F3
	v_add_u32_e32 v243, 64, v243                               // 00000000CE68: 69E7E6C0
	s_nop 0                                                    // 00000000CE6C: BF800000
	v_cndmask_b32_e64 v131, v66, v131, s[40:41]                // 00000000CE70: D1000083 00A30742
	v_cmp_le_u32_e64 s[40:41], v240, v64                       // 00000000CE78: D0CB0028 000281F0
	v_add_u32_e32 v240, 64, v240                               // 00000000CE80: 69E1E0C0
	s_nop 0                                                    // 00000000CE84: BF800000
	v_cndmask_b32_e64 v132, v66, v132, s[40:41]                // 00000000CE88: D1000084 00A30942
	v_cmp_le_u32_e64 s[40:41], v241, v64                       // 00000000CE90: D0CB0028 000281F1
	v_add_u32_e32 v241, 64, v241                               // 00000000CE98: 69E3E2C0
	s_nop 0                                                    // 00000000CE9C: BF800000
	v_cndmask_b32_e64 v133, v66, v133, s[40:41]                // 00000000CEA0: D1000085 00A30B42
	v_cmp_le_u32_e64 s[40:41], v242, v64                       // 00000000CEA8: D0CB0028 000281F2
	v_add_u32_e32 v242, 64, v242                               // 00000000CEB0: 69E5E4C0
	s_nop 0                                                    // 00000000CEB4: BF800000
	v_cndmask_b32_e64 v134, v66, v134, s[40:41]                // 00000000CEB8: D1000086 00A30D42
	v_cmp_le_u32_e64 s[40:41], v243, v64                       // 00000000CEC0: D0CB0028 000281F3
	v_add_u32_e32 v243, 64, v243                               // 00000000CEC8: 69E7E6C0
	s_nop 0                                                    // 00000000CECC: BF800000
	v_cndmask_b32_e64 v135, v66, v135, s[40:41]                // 00000000CED0: D1000087 00A30F42
	v_cmp_le_u32_e64 s[40:41], v240, v64                       // 00000000CED8: D0CB0028 000281F0
	v_add_u32_e32 v240, 64, v240                               // 00000000CEE0: 69E1E0C0
	s_nop 0                                                    // 00000000CEE4: BF800000
	v_cndmask_b32_e64 v136, v66, v136, s[40:41]                // 00000000CEE8: D1000088 00A31142
	v_cmp_le_u32_e64 s[40:41], v241, v64                       // 00000000CEF0: D0CB0028 000281F1
	v_add_u32_e32 v241, 64, v241                               // 00000000CEF8: 69E3E2C0
	s_nop 0                                                    // 00000000CEFC: BF800000
	v_cndmask_b32_e64 v137, v66, v137, s[40:41]                // 00000000CF00: D1000089 00A31342
	v_cmp_le_u32_e64 s[40:41], v242, v64                       // 00000000CF08: D0CB0028 000281F2
	v_add_u32_e32 v242, 64, v242                               // 00000000CF10: 69E5E4C0
	s_nop 0                                                    // 00000000CF14: BF800000
	v_cndmask_b32_e64 v138, v66, v138, s[40:41]                // 00000000CF18: D100008A 00A31542
	v_cmp_le_u32_e64 s[40:41], v243, v64                       // 00000000CF20: D0CB0028 000281F3
	v_add_u32_e32 v243, 64, v243                               // 00000000CF28: 69E7E6C0
	s_nop 0                                                    // 00000000CF2C: BF800000
	v_cndmask_b32_e64 v139, v66, v139, s[40:41]                // 00000000CF30: D100008B 00A31742
	v_cmp_le_u32_e64 s[40:41], v240, v64                       // 00000000CF38: D0CB0028 000281F0
	v_add_u32_e32 v240, 64, v240                               // 00000000CF40: 69E1E0C0
	s_nop 0                                                    // 00000000CF44: BF800000
	v_cndmask_b32_e64 v140, v66, v140, s[40:41]                // 00000000CF48: D100008C 00A31942
	v_cmp_le_u32_e64 s[40:41], v241, v64                       // 00000000CF50: D0CB0028 000281F1
	v_add_u32_e32 v241, 64, v241                               // 00000000CF58: 69E3E2C0
	s_nop 0                                                    // 00000000CF5C: BF800000
	v_cndmask_b32_e64 v141, v66, v141, s[40:41]                // 00000000CF60: D100008D 00A31B42
	v_cmp_le_u32_e64 s[40:41], v242, v64                       // 00000000CF68: D0CB0028 000281F2
	v_add_u32_e32 v242, 64, v242                               // 00000000CF70: 69E5E4C0
	s_nop 0                                                    // 00000000CF74: BF800000
	v_cndmask_b32_e64 v142, v66, v142, s[40:41]                // 00000000CF78: D100008E 00A31D42
	v_cmp_le_u32_e64 s[40:41], v243, v64                       // 00000000CF80: D0CB0028 000281F3
	v_add_u32_e32 v243, 64, v243                               // 00000000CF88: 69E7E6C0
	s_nop 0                                                    // 00000000CF8C: BF800000
	v_cndmask_b32_e64 v143, v66, v143, s[40:41]                // 00000000CF90: D100008F 00A31F42

000000000000cf98 <label_2B66>:
	s_add_u32 s90, s91, s90                                    // 00000000CF98: 805A5A5B
	v_mov_b32_e32 v48, v128                                    // 00000000CF9C: 7E600380
	v_max3_f32 v48, v128, v129, v48                            // 00000000CFA0: D1D30030 04C30380
	v_max3_f32 v48, v130, v131, v48                            // 00000000CFA8: D1D30030 04C30782
	v_max3_f32 v48, v132, v133, v48                            // 00000000CFB0: D1D30030 04C30B84
	v_max3_f32 v48, v134, v135, v48                            // 00000000CFB8: D1D30030 04C30F86
	v_max3_f32 v48, v136, v137, v48                            // 00000000CFC0: D1D30030 04C31388
	v_max3_f32 v48, v138, v139, v48                            // 00000000CFC8: D1D30030 04C3178A
	v_max3_f32 v48, v140, v141, v48                            // 00000000CFD0: D1D30030 04C31B8C
	v_max3_f32 v48, v142, v143, v48                            // 00000000CFD8: D1D30030 04C31F8E
	ds_write_b32 v8, v48 offset:16896                          // 00000000CFE0: D81A4200 00003008
	v_mul_f32_e32 v216, v50, v216                              // 00000000CFE8: 0BB1B132
	v_mul_f32_e32 v217, v50, v217                              // 00000000CFEC: 0BB3B332
	v_mul_f32_e32 v218, v50, v218                              // 00000000CFF0: 0BB5B532
	v_mul_f32_e32 v219, v50, v219                              // 00000000CFF4: 0BB7B732
	v_mul_f32_e32 v220, v50, v220                              // 00000000CFF8: 0BB9B932
	v_mul_f32_e32 v221, v50, v221                              // 00000000CFFC: 0BBBBB32
	v_mul_f32_e32 v222, v50, v222                              // 00000000D000: 0BBDBD32
	v_mul_f32_e32 v223, v50, v223                              // 00000000D004: 0BBFBF32
	s_waitcnt lgkmcnt(0)                                       // 00000000D008: BF8CC07F
	s_barrier                                                  // 00000000D00C: BF8A0000
	ds_read_b32 v64, v7 offset:16896                           // 00000000D010: D86C4200 40000007
	ds_read_b32 v65, v7 offset:16960                           // 00000000D018: D86C4240 41000007
	ds_read_b32 v66, v7 offset:17024                           // 00000000D020: D86C4280 42000007
	ds_read_b32 v67, v7 offset:17088                           // 00000000D028: D86C42C0 43000007
	ds_read_b32 v68, v7 offset:17152                           // 00000000D030: D86C4300 44000007
	ds_read_b32 v69, v7 offset:17216                           // 00000000D038: D86C4340 45000007
	ds_read_b32 v70, v7 offset:17280                           // 00000000D040: D86C4380 46000007
	ds_read_b32 v71, v7 offset:17344                           // 00000000D048: D86C43C0 47000007
	ds_read_b32 v72, v7 offset:17408                           // 00000000D050: D86C4400 48000007
	ds_read_b32 v73, v7 offset:17472                           // 00000000D058: D86C4440 49000007
	ds_read_b32 v74, v7 offset:17536                           // 00000000D060: D86C4480 4A000007
	ds_read_b32 v75, v7 offset:17600                           // 00000000D068: D86C44C0 4B000007
	ds_read_b32 v76, v7 offset:17664                           // 00000000D070: D86C4500 4C000007
	ds_read_b32 v77, v7 offset:17728                           // 00000000D078: D86C4540 4D000007
	ds_read_b32 v78, v7 offset:17792                           // 00000000D080: D86C4580 4E000007
	ds_read_b32 v79, v7 offset:17856                           // 00000000D088: D86C45C0 4F000007
	v_cvt_f32_i32_e32 v184, v184                               // 00000000D090: 7F700BB8
	v_cvt_f32_i32_e32 v185, v185                               // 00000000D094: 7F720BB9
	v_cvt_f32_i32_e32 v186, v186                               // 00000000D098: 7F740BBA
	v_cvt_f32_i32_e32 v187, v187                               // 00000000D09C: 7F760BBB
	v_cvt_f32_i32_e32 v188, v188                               // 00000000D0A0: 7F780BBC
	v_cvt_f32_i32_e32 v189, v189                               // 00000000D0A4: 7F7A0BBD
	v_cvt_f32_i32_e32 v190, v190                               // 00000000D0A8: 7F7C0BBE
	v_cvt_f32_i32_e32 v191, v191                               // 00000000D0AC: 7F7E0BBF
	v_mul_f32_e32 v184, v45, v184                              // 00000000D0B0: 0B71712D
	v_mul_f32_e32 v185, v45, v185                              // 00000000D0B4: 0B73732D
	v_mul_f32_e32 v186, v45, v186                              // 00000000D0B8: 0B75752D
	v_mul_f32_e32 v187, v45, v187                              // 00000000D0BC: 0B77772D
	v_mul_f32_e32 v188, v45, v188                              // 00000000D0C0: 0B79792D
	v_mul_f32_e32 v189, v45, v189                              // 00000000D0C4: 0B7B7B2D
	v_mul_f32_e32 v190, v45, v190                              // 00000000D0C8: 0B7D7D2D
	v_mul_f32_e32 v191, v45, v191                              // 00000000D0CC: 0B7F7F2D
	s_waitcnt lgkmcnt(0)                                       // 00000000D0D0: BF8CC07F
	v_max3_f32 v48, v64, v65, v48                              // 00000000D0D4: D1D30030 04C28340
	v_max3_f32 v48, v66, v67, v48                              // 00000000D0DC: D1D30030 04C28742
	v_max3_f32 v48, v68, v69, v48                              // 00000000D0E4: D1D30030 04C28B44
	v_max3_f32 v48, v70, v71, v48                              // 00000000D0EC: D1D30030 04C28F46
	v_max3_f32 v48, v72, v73, v48                              // 00000000D0F4: D1D30030 04C29348
	v_max3_f32 v48, v74, v75, v48                              // 00000000D0FC: D1D30030 04C2974A
	v_max3_f32 v48, v76, v77, v48                              // 00000000D104: D1D30030 04C29B4C
	v_max3_f32 v48, v78, v79, v48                              // 00000000D10C: D1D30030 04C29F4E
	v_mov_b32_e32 v64, 0xff800000                              // 00000000D114: 7E8002FF FF800000
	v_cmp_eq_u32_e64 s[40:41], v64, v12                        // 00000000D11C: D0CA0028 00021940
	s_nop 1                                                    // 00000000D124: BF800001
	v_max_f32_e32 v15, v48, v12                                // 00000000D128: 161E1930
	v_mul_f32_e32 v53, s64, v15                                // 00000000D12C: 0A6A1E40
	v_fma_f32 v128, v128, s64, -v53                            // 00000000D130: D1CB0080 84D48180
	v_fma_f32 v129, v129, s64, -v53                            // 00000000D138: D1CB0081 84D48181
	v_fma_f32 v130, v130, s64, -v53                            // 00000000D140: D1CB0082 84D48182
	v_fma_f32 v131, v131, s64, -v53                            // 00000000D148: D1CB0083 84D48183
	v_fma_f32 v132, v132, s64, -v53                            // 00000000D150: D1CB0084 84D48184
	v_fma_f32 v133, v133, s64, -v53                            // 00000000D158: D1CB0085 84D48185
	v_fma_f32 v134, v134, s64, -v53                            // 00000000D160: D1CB0086 84D48186
	v_fma_f32 v135, v135, s64, -v53                            // 00000000D168: D1CB0087 84D48187
	v_fma_f32 v136, v136, s64, -v53                            // 00000000D170: D1CB0088 84D48188
	v_fma_f32 v137, v137, s64, -v53                            // 00000000D178: D1CB0089 84D48189
	v_fma_f32 v138, v138, s64, -v53                            // 00000000D180: D1CB008A 84D4818A
	v_fma_f32 v139, v139, s64, -v53                            // 00000000D188: D1CB008B 84D4818B
	v_fma_f32 v140, v140, s64, -v53                            // 00000000D190: D1CB008C 84D4818C
	v_fma_f32 v141, v141, s64, -v53                            // 00000000D198: D1CB008D 84D4818D
	v_fma_f32 v142, v142, s64, -v53                            // 00000000D1A0: D1CB008E 84D4818E
	v_fma_f32 v143, v143, s64, -v53                            // 00000000D1A8: D1CB008F 84D4818F
	v_exp_f32_e32 v128, v128                                   // 00000000D1B0: 7F004180
	v_exp_f32_e32 v129, v129                                   // 00000000D1B4: 7F024181
	v_exp_f32_e32 v130, v130                                   // 00000000D1B8: 7F044182
	v_exp_f32_e32 v131, v131                                   // 00000000D1BC: 7F064183
	v_exp_f32_e32 v132, v132                                   // 00000000D1C0: 7F084184
	v_exp_f32_e32 v133, v133                                   // 00000000D1C4: 7F0A4185
	v_exp_f32_e32 v134, v134                                   // 00000000D1C8: 7F0C4186
	v_exp_f32_e32 v135, v135                                   // 00000000D1CC: 7F0E4187
	v_exp_f32_e32 v136, v136                                   // 00000000D1D0: 7F104188
	v_exp_f32_e32 v137, v137                                   // 00000000D1D4: 7F124189
	v_exp_f32_e32 v138, v138                                   // 00000000D1D8: 7F14418A
	v_exp_f32_e32 v139, v139                                   // 00000000D1DC: 7F16418B
	v_exp_f32_e32 v140, v140                                   // 00000000D1E0: 7F18418C
	v_exp_f32_e32 v141, v141                                   // 00000000D1E4: 7F1A418D
	v_exp_f32_e32 v142, v142                                   // 00000000D1E8: 7F1C418E
	v_exp_f32_e32 v143, v143                                   // 00000000D1EC: 7F1E418F
	v_mul_f32_dpp v240, v252, v128 quad_perm:[0,0,0,0] row_mask:0xf bank_mask:0xf// 00000000D1F0: 0BE100FA FF0000FC
	v_mul_f32_dpp v241, v252, v129 quad_perm:[1,1,1,1] row_mask:0xf bank_mask:0xf// 00000000D1F8: 0BE302FA FF0055FC
	v_mul_f32_dpp v242, v252, v130 quad_perm:[2,2,2,2] row_mask:0xf bank_mask:0xf// 00000000D200: 0BE504FA FF00AAFC
	v_mul_f32_dpp v243, v252, v131 quad_perm:[3,3,3,3] row_mask:0xf bank_mask:0xf// 00000000D208: 0BE706FA FF00FFFC
	v_mul_f32_dpp v244, v253, v132 quad_perm:[0,0,0,0] row_mask:0xf bank_mask:0xf// 00000000D210: 0BE908FA FF0000FD
	v_mul_f32_dpp v245, v253, v133 quad_perm:[1,1,1,1] row_mask:0xf bank_mask:0xf// 00000000D218: 0BEB0AFA FF0055FD
	v_mul_f32_dpp v246, v253, v134 quad_perm:[2,2,2,2] row_mask:0xf bank_mask:0xf// 00000000D220: 0BED0CFA FF00AAFD
	v_mul_f32_dpp v247, v253, v135 quad_perm:[3,3,3,3] row_mask:0xf bank_mask:0xf// 00000000D228: 0BEF0EFA FF00FFFD
	v_mul_f32_dpp v248, v254, v136 quad_perm:[0,0,0,0] row_mask:0xf bank_mask:0xf// 00000000D230: 0BF110FA FF0000FE
	v_mul_f32_dpp v249, v254, v137 quad_perm:[1,1,1,1] row_mask:0xf bank_mask:0xf// 00000000D238: 0BF312FA FF0055FE
	v_mul_f32_dpp v250, v254, v138 quad_perm:[2,2,2,2] row_mask:0xf bank_mask:0xf// 00000000D240: 0BF514FA FF00AAFE
	v_mul_f32_dpp v251, v254, v139 quad_perm:[3,3,3,3] row_mask:0xf bank_mask:0xf// 00000000D248: 0BF716FA FF00FFFE
	v_mul_f32_dpp v252, v255, v140 quad_perm:[0,0,0,0] row_mask:0xf bank_mask:0xf// 00000000D250: 0BF918FA FF0000FF
	v_mul_f32_dpp v253, v255, v141 quad_perm:[1,1,1,1] row_mask:0xf bank_mask:0xf// 00000000D258: 0BFB1AFA FF0055FF
	v_mul_f32_dpp v254, v255, v142 quad_perm:[2,2,2,2] row_mask:0xf bank_mask:0xf// 00000000D260: 0BFD1CFA FF00AAFF
	v_mul_f32_dpp v255, v255, v143 quad_perm:[3,3,3,3] row_mask:0xf bank_mask:0xf// 00000000D268: 0BFF1EFA FF00FFFF
	v_mov_b32_e32 v48, 0x358637bd                              // 00000000D270: 7E6002FF 358637BD
	v_max3_f32 v48, |v240|, |v241|, v48                        // 00000000D278: D1D30330 04C3E3F0
	v_max3_f32 v48, |v242|, |v243|, v48                        // 00000000D280: D1D30330 04C3E7F2
	v_max3_f32 v48, |v244|, |v245|, v48                        // 00000000D288: D1D30330 04C3EBF4
	v_max3_f32 v48, |v246|, |v247|, v48                        // 00000000D290: D1D30330 04C3EFF6
	v_max3_f32 v48, |v248|, |v249|, v48                        // 00000000D298: D1D30330 04C3F3F8
	v_max3_f32 v48, |v250|, |v251|, v48                        // 00000000D2A0: D1D30330 04C3F7FA
	v_max3_f32 v48, |v252|, |v253|, v48                        // 00000000D2A8: D1D30330 04C3FBFC
	v_max3_f32 v48, |v254|, |v255|, v48                        // 00000000D2B0: D1D30330 04C3FFFE
	ds_write_b32 v8, v48 offset:20992                          // 00000000D2B8: D81A5200 00003008
	v_sub_f32_e32 v50, v12, v15                                // 00000000D2C0: 04641F0C
	v_cndmask_b32_e64 v50, v50, 0, s[40:41]                    // 00000000D2C4: D1000032 00A10132
	v_mov_b32_e32 v12, v15                                     // 00000000D2CC: 7E18030F
	v_mul_f32_e32 v50, s64, v50                                // 00000000D2D0: 0A646440
	v_exp_f32_e32 v50, v50                                     // 00000000D2D4: 7E644132
	s_waitcnt lgkmcnt(0)                                       // 00000000D2D8: BF8CC07F
	s_barrier                                                  // 00000000D2DC: BF8A0000
	ds_read_b32 v64, v7 offset:20992                           // 00000000D2E0: D86C5200 40000007
	ds_read_b32 v65, v7 offset:21056                           // 00000000D2E8: D86C5240 41000007
	ds_read_b32 v66, v7 offset:21120                           // 00000000D2F0: D86C5280 42000007
	ds_read_b32 v67, v7 offset:21184                           // 00000000D2F8: D86C52C0 43000007
	ds_read_b32 v68, v7 offset:21248                           // 00000000D300: D86C5300 44000007
	ds_read_b32 v69, v7 offset:21312                           // 00000000D308: D86C5340 45000007
	ds_read_b32 v70, v7 offset:21376                           // 00000000D310: D86C5380 46000007
	ds_read_b32 v71, v7 offset:21440                           // 00000000D318: D86C53C0 47000007
	ds_read_b32 v72, v7 offset:21504                           // 00000000D320: D86C5400 48000007
	ds_read_b32 v73, v7 offset:21568                           // 00000000D328: D86C5440 49000007
	ds_read_b32 v74, v7 offset:21632                           // 00000000D330: D86C5480 4A000007
	ds_read_b32 v75, v7 offset:21696                           // 00000000D338: D86C54C0 4B000007
	ds_read_b32 v76, v7 offset:21760                           // 00000000D340: D86C5500 4C000007
	ds_read_b32 v77, v7 offset:21824                           // 00000000D348: D86C5540 4D000007
	ds_read_b32 v78, v7 offset:21888                           // 00000000D350: D86C5580 4E000007
	ds_read_b32 v79, v7 offset:21952                           // 00000000D358: D86C55C0 4F000007
	v_mul_f32_e32 v39, v50, v39                                // 00000000D360: 0A4E4F32
	v_mov_b32_e32 v15, v128                                    // 00000000D364: 7E1E0380
	v_add_f32_e32 v15, v129, v15                               // 00000000D368: 021E1F81
	v_add_f32_e32 v15, v130, v15                               // 00000000D36C: 021E1F82
	v_add_f32_e32 v15, v131, v15                               // 00000000D370: 021E1F83
	v_add_f32_e32 v15, v132, v15                               // 00000000D374: 021E1F84
	v_add_f32_e32 v15, v133, v15                               // 00000000D378: 021E1F85
	v_add_f32_e32 v15, v134, v15                               // 00000000D37C: 021E1F86
	v_add_f32_e32 v15, v135, v15                               // 00000000D380: 021E1F87
	v_add_f32_e32 v15, v136, v15                               // 00000000D384: 021E1F88
	v_add_f32_e32 v15, v137, v15                               // 00000000D388: 021E1F89
	v_add_f32_e32 v15, v138, v15                               // 00000000D38C: 021E1F8A
	v_add_f32_e32 v15, v139, v15                               // 00000000D390: 021E1F8B
	v_add_f32_e32 v15, v140, v15                               // 00000000D394: 021E1F8C
	v_add_f32_e32 v15, v141, v15                               // 00000000D398: 021E1F8D
	v_add_f32_e32 v15, v142, v15                               // 00000000D39C: 021E1F8E
	v_add_f32_e32 v15, v143, v15                               // 00000000D3A0: 021E1F8F
	v_add_f32_e32 v39, v15, v39                                // 00000000D3A4: 024E4F0F
	s_waitcnt lgkmcnt(0)                                       // 00000000D3A8: BF8CC07F
	v_max3_f32 v48, |v64|, |v65|, v48                          // 00000000D3AC: D1D30330 04C28340
	v_max3_f32 v48, |v66|, |v67|, v48                          // 00000000D3B4: D1D30330 04C28742
	v_max3_f32 v48, |v68|, |v69|, v48                          // 00000000D3BC: D1D30330 04C28B44
	v_max3_f32 v48, |v70|, |v71|, v48                          // 00000000D3C4: D1D30330 04C28F46
	v_max3_f32 v48, |v72|, |v73|, v48                          // 00000000D3CC: D1D30330 04C29348
	v_max3_f32 v48, |v74|, |v75|, v48                          // 00000000D3D4: D1D30330 04C2974A
	v_max3_f32 v48, |v76|, |v77|, v48                          // 00000000D3DC: D1D30330 04C29B4C
	v_max3_f32 v48, |v78|, |v79|, v48                          // 00000000D3E4: D1D30330 04C29F4E
	s_nop 2                                                    // 00000000D3EC: BF800002
	v_rcp_f32_e32 v48, v48                                     // 00000000D3F0: 7E604530
	s_nop 1                                                    // 00000000D3F4: BF800001
	v_mul_f32_e32 v48, 0x42fe0000, v48                         // 00000000D3F8: 0A6060FF 42FE0000
	v_mul_f32_e32 v128, v48, v240                              // 00000000D400: 0B01E130
	v_mul_f32_e32 v129, v48, v241                              // 00000000D404: 0B03E330
	v_mul_f32_e32 v130, v48, v242                              // 00000000D408: 0B05E530
	v_mul_f32_e32 v131, v48, v243                              // 00000000D40C: 0B07E730
	v_mul_f32_e32 v132, v48, v244                              // 00000000D410: 0B09E930
	v_mul_f32_e32 v133, v48, v245                              // 00000000D414: 0B0BEB30
	v_mul_f32_e32 v134, v48, v246                              // 00000000D418: 0B0DED30
	v_mul_f32_e32 v135, v48, v247                              // 00000000D41C: 0B0FEF30
	v_mul_f32_e32 v136, v48, v248                              // 00000000D420: 0B11F130
	v_mul_f32_e32 v137, v48, v249                              // 00000000D424: 0B13F330
	v_mul_f32_e32 v138, v48, v250                              // 00000000D428: 0B15F530
	v_mul_f32_e32 v139, v48, v251                              // 00000000D42C: 0B17F730
	v_mul_f32_e32 v140, v48, v252                              // 00000000D430: 0B19F930
	v_mul_f32_e32 v141, v48, v253                              // 00000000D434: 0B1BFB30
	v_mul_f32_e32 v142, v48, v254                              // 00000000D438: 0B1DFD30
	v_mul_f32_e32 v143, v48, v255                              // 00000000D43C: 0B1FFF30
	v_cvt_i32_f32_e32 v128, v128                               // 00000000D440: 7F001180
	v_cvt_i32_f32_e32 v129, v129                               // 00000000D444: 7F021181
	v_cvt_i32_f32_e32 v130, v130                               // 00000000D448: 7F041182
	v_cvt_i32_f32_e32 v131, v131                               // 00000000D44C: 7F061183
	v_cvt_i32_f32_e32 v132, v132                               // 00000000D450: 7F081184
	v_cvt_i32_f32_e32 v133, v133                               // 00000000D454: 7F0A1185
	v_cvt_i32_f32_e32 v134, v134                               // 00000000D458: 7F0C1186
	v_cvt_i32_f32_e32 v135, v135                               // 00000000D45C: 7F0E1187
	v_cvt_i32_f32_e32 v136, v136                               // 00000000D460: 7F101188
	v_cvt_i32_f32_e32 v137, v137                               // 00000000D464: 7F121189
	v_cvt_i32_f32_e32 v138, v138                               // 00000000D468: 7F14118A
	v_cvt_i32_f32_e32 v139, v139                               // 00000000D46C: 7F16118B
	v_cvt_i32_f32_e32 v140, v140                               // 00000000D470: 7F18118C
	v_cvt_i32_f32_e32 v141, v141                               // 00000000D474: 7F1A118D
	v_cvt_i32_f32_e32 v142, v142                               // 00000000D478: 7F1C118E
	v_cvt_i32_f32_e32 v143, v143                               // 00000000D47C: 7F1E118F
	v_perm_b32 v128, v129, v128, s53                           // 00000000D480: D1ED0080 00D70181
	v_perm_b32 v128, v130, v128, s54                           // 00000000D488: D1ED0080 00DB0182
	v_perm_b32 v128, v131, v128, s55                           // 00000000D490: D1ED0080 00DF0183
	v_perm_b32 v129, v133, v132, s53                           // 00000000D498: D1ED0081 00D70985
	v_perm_b32 v129, v134, v129, s54                           // 00000000D4A0: D1ED0081 00DB0386
	v_perm_b32 v129, v135, v129, s55                           // 00000000D4A8: D1ED0081 00DF0387
	v_perm_b32 v130, v137, v136, s53                           // 00000000D4B0: D1ED0082 00D71189
	v_perm_b32 v130, v138, v130, s54                           // 00000000D4B8: D1ED0082 00DB058A
	v_perm_b32 v130, v139, v130, s55                           // 00000000D4C0: D1ED0082 00DF058B
	v_perm_b32 v131, v141, v140, s53                           // 00000000D4C8: D1ED0083 00D7198D
	v_perm_b32 v131, v142, v131, s54                           // 00000000D4D0: D1ED0083 00DB078E
	v_perm_b32 v131, v143, v131, s55                           // 00000000D4D8: D1ED0083 00DF078F
	ds_write_b32 v10, v128 offset:29184                        // 00000000D4E0: D81A7200 0000800A
	ds_write_b32 v10, v129 offset:30208                        // 00000000D4E8: D81A7600 0000810A
	ds_write_b32 v10, v130 offset:31232                        // 00000000D4F0: D81A7A00 0000820A
	ds_write_b32 v10, v131 offset:32256                        // 00000000D4F8: D81A7E00 0000830A
	v_add_f32_e32 v216, v216, v184                             // 00000000D500: 03B171D8
	v_add_f32_e32 v217, v217, v185                             // 00000000D504: 03B373D9
	v_add_f32_e32 v218, v218, v186                             // 00000000D508: 03B575DA
	v_add_f32_e32 v219, v219, v187                             // 00000000D50C: 03B777DB
	v_add_f32_e32 v220, v220, v188                             // 00000000D510: 03B979DC
	v_add_f32_e32 v221, v221, v189                             // 00000000D514: 03BB7BDD
	v_add_f32_e32 v222, v222, v190                             // 00000000D518: 03BD7DDE
	v_add_f32_e32 v223, v223, v191                             // 00000000D51C: 03BF7FDF
	v_rcp_f32_e32 v45, v48                                     // 00000000D520: 7E5A4530
	s_waitcnt lgkmcnt(0)                                       // 00000000D524: BF8CC07F
	s_barrier                                                  // 00000000D528: BF8A0000
	ds_read_b64 v[128:129], v9 offset:29184                    // 00000000D52C: D8EC7200 80000009
	ds_read_b64 v[130:131], v9 offset:29312                    // 00000000D534: D8EC7280 82000009
	ds_read_b64 v[132:133], v9 offset:30208                    // 00000000D53C: D8EC7600 84000009
	ds_read_b64 v[134:135], v9 offset:30336                    // 00000000D544: D8EC7680 86000009
	ds_read_b64 v[136:137], v9 offset:31232                    // 00000000D54C: D8EC7A00 88000009
	ds_read_b64 v[138:139], v9 offset:31360                    // 00000000D554: D8EC7A80 8A000009
	ds_read_b64 v[140:141], v9 offset:32256                    // 00000000D55C: D8EC7E00 8C000009
	ds_read_b64 v[142:143], v9 offset:32384                    // 00000000D564: D8EC7E80 8E000009
	s_waitcnt vmcnt(15)                                        // 00000000D56C: BF8C0F7F
	v_mfma_i32_16x16x32_i8 v[176:179], a[96:97], v[112:113], 0 // 00000000D570: D3D700B0 0A02E160
	buffer_load_dwordx4 a[80:83], v30, s[20:23], 0 offen offset:1024// 00000000D578: E05C1400 8085501E
	v_mfma_i32_16x16x32_i8 v[176:179], a[98:99], v[114:115], v[176:179]// 00000000D580: D3D700B0 0EC2E562
	v_mfma_i32_16x16x32_i8 v[176:179], a[100:101], v[116:117], v[176:179]// 00000000D588: D3D700B0 0EC2E964
	v_mfma_i32_16x16x32_i8 v[176:179], a[102:103], v[118:119], v[176:179]// 00000000D590: D3D700B0 0EC2ED66
	v_mfma_i32_16x16x32_i8 v[176:179], a[104:105], v[120:121], v[176:179]// 00000000D598: D3D700B0 0EC2F168
	buffer_load_dwordx4 a[84:87], v31, s[20:23], 0 offen offset:1024// 00000000D5A0: E05C1400 8085541F
	v_mfma_i32_16x16x32_i8 v[176:179], a[106:107], v[122:123], v[176:179]// 00000000D5A8: D3D700B0 0EC2F56A
	v_mfma_i32_16x16x32_i8 v[176:179], a[108:109], v[124:125], v[176:179]// 00000000D5B0: D3D700B0 0EC2F96C
	v_mfma_i32_16x16x32_i8 v[176:179], a[110:111], v[126:127], v[176:179]// 00000000D5B8: D3D700B0 0EC2FD6E
	v_mfma_i32_16x16x32_i8 v[180:183], a[112:113], v[112:113], 0// 00000000D5C0: D3D700B4 0A02E170
	buffer_load_dwordx4 a[88:91], v32, s[20:23], 0 offen offset:1024// 00000000D5C8: E05C1400 80855820
	v_mfma_i32_16x16x32_i8 v[180:183], a[114:115], v[114:115], v[180:183]// 00000000D5D0: D3D700B4 0ED2E572
	v_mfma_i32_16x16x32_i8 v[180:183], a[116:117], v[116:117], v[180:183]// 00000000D5D8: D3D700B4 0ED2E974
	v_mfma_i32_16x16x32_i8 v[180:183], a[118:119], v[118:119], v[180:183]// 00000000D5E0: D3D700B4 0ED2ED76
	v_mfma_i32_16x16x32_i8 v[180:183], a[120:121], v[120:121], v[180:183]// 00000000D5E8: D3D700B4 0ED2F178
	buffer_load_dwordx4 a[92:95], v33, s[20:23], 0 offen offset:1024// 00000000D5F0: E05C1400 80855C21
	v_mfma_i32_16x16x32_i8 v[180:183], a[122:123], v[122:123], v[180:183]// 00000000D5F8: D3D700B4 0ED2F57A
	v_mfma_i32_16x16x32_i8 v[180:183], a[124:125], v[124:125], v[180:183]// 00000000D600: D3D700B4 0ED2F97C
	s_lshr_b32 s57, s70, 4                                     // 00000000D608: 8F398446
	s_add_u32 s57, 48, s57                                     // 00000000D60C: 803939B0
	v_mfma_i32_16x16x32_i8 v[180:183], a[126:127], v[126:127], v[180:183]// 00000000D610: D3D700B4 0ED2FD7E
	s_cmp_ge_u32 s57, s73                                      // 00000000D618: BF094939
	s_cselect_b32 s56, 0, s56                                  // 00000000D61C: 85383880
	v_mfma_i32_16x16x32_i8 v[184:187], a[96:97], v[128:129], 0 // 00000000D620: D3D700B8 0A030160
	v_mfma_i32_16x16x32_i8 v[184:187], a[98:99], v[130:131], v[184:187]// 00000000D628: D3D700B8 0EE30562
	v_mfma_i32_16x16x32_i8 v[184:187], a[100:101], v[132:133], v[184:187]// 00000000D630: D3D700B8 0EE30964
	v_mfma_i32_16x16x32_i8 v[184:187], a[102:103], v[134:135], v[184:187]// 00000000D638: D3D700B8 0EE30D66
	v_mfma_i32_16x16x32_i8 v[184:187], a[104:105], v[136:137], v[184:187]// 00000000D640: D3D700B8 0EE31168
	v_mfma_i32_16x16x32_i8 v[184:187], a[106:107], v[138:139], v[184:187]// 00000000D648: D3D700B8 0EE3156A
	v_mfma_i32_16x16x32_i8 v[184:187], a[108:109], v[140:141], v[184:187]// 00000000D650: D3D700B8 0EE3196C
	v_mfma_i32_16x16x32_i8 v[184:187], a[110:111], v[142:143], v[184:187]// 00000000D658: D3D700B8 0EE31D6E
	v_mfma_i32_16x16x32_i8 v[188:191], a[112:113], v[128:129], 0// 00000000D660: D3D700BC 0A030170
	v_mfma_i32_16x16x32_i8 v[188:191], a[114:115], v[130:131], v[188:191]// 00000000D668: D3D700BC 0EF30572
	v_mfma_i32_16x16x32_i8 v[188:191], a[116:117], v[132:133], v[188:191]// 00000000D670: D3D700BC 0EF30974
	v_mfma_i32_16x16x32_i8 v[188:191], a[118:119], v[134:135], v[188:191]// 00000000D678: D3D700BC 0EF30D76
	v_mfma_i32_16x16x32_i8 v[188:191], a[120:121], v[136:137], v[188:191]// 00000000D680: D3D700BC 0EF31178
	v_mfma_i32_16x16x32_i8 v[188:191], a[122:123], v[138:139], v[188:191]// 00000000D688: D3D700BC 0EF3157A
	v_mfma_i32_16x16x32_i8 v[188:191], a[124:125], v[140:141], v[188:191]// 00000000D690: D3D700BC 0EF3197C
	v_mfma_i32_16x16x32_i8 v[188:191], a[126:127], v[142:143], v[188:191]// 00000000D698: D3D700BC 0EF31D7E
	v_add_u32_e32 v1, s56, v1                                  // 00000000D6A0: 68020238
	s_addk_i32 s70, 0x100                                      // 00000000D6A4: B7460100
	s_cmp_lt_i32 s70, s71                                      // 00000000D6A8: BF044746
	s_cbranch_scc0 label_221F                                  // 00000000D6AC: BF84F4F3
	s_branch label_2222                                        // 00000000D6B0: BF82F4F5

000000000000d6b4 <label_2D2D>:
	s_lshr_b32 s60, s71, 4                                     // 00000000D6B4: 8F3C8447
	s_cmp_eq_i32 s60, s73                                      // 00000000D6B8: BF00493C
	s_cbranch_scc1 label_3976                                  // 00000000D6BC: BF850C46
	s_lshr_b32 s60, s71, 8                                     // 00000000D6C0: 8F3C8847
	s_and_b32 s60, s60, 1                                      // 00000000D6C4: 863C813C
	s_cmp_eq_i32 s60, 1                                        // 00000000D6C8: BF00813C
	s_cbranch_scc1 label_3355                                  // 00000000D6CC: BF850621
	s_waitcnt vmcnt(8) lgkmcnt(0)                              // 00000000D6D0: BF8C0078
	s_barrier                                                  // 00000000D6D4: BF8A0000
	v_mfma_i32_16x16x32_i8 v[112:115], a[0:1], v[80:81], 0     // 00000000D6D8: D3D70070 0A02A100
	v_mfma_i32_16x16x32_i8 v[112:115], a[2:3], v[82:83], v[112:115]// 00000000D6E0: D3D70070 0DC2A502
	v_mfma_i32_16x16x32_i8 v[112:115], a[4:5], v[84:85], v[112:115]// 00000000D6E8: D3D70070 0DC2A904
	v_mfma_i32_16x16x32_i8 v[112:115], a[6:7], v[86:87], v[112:115]// 00000000D6F0: D3D70070 0DC2AD06
	v_mfma_i32_16x16x32_i8 v[116:119], a[8:9], v[80:81], 0     // 00000000D6F8: D3D70074 0A02A108
	v_mfma_i32_16x16x32_i8 v[116:119], a[10:11], v[82:83], v[116:119]// 00000000D700: D3D70074 0DD2A50A
	v_mfma_i32_16x16x32_i8 v[116:119], a[12:13], v[84:85], v[116:119]// 00000000D708: D3D70074 0DD2A90C
	v_mfma_i32_16x16x32_i8 v[116:119], a[14:15], v[86:87], v[116:119]// 00000000D710: D3D70074 0DD2AD0E
	v_mfma_i32_16x16x32_i8 v[120:123], a[16:17], v[80:81], 0   // 00000000D718: D3D70078 0A02A110
	v_mfma_i32_16x16x32_i8 v[120:123], a[18:19], v[82:83], v[120:123]// 00000000D720: D3D70078 0DE2A512
	v_mfma_i32_16x16x32_i8 v[120:123], a[20:21], v[84:85], v[120:123]// 00000000D728: D3D70078 0DE2A914
	v_mfma_i32_16x16x32_i8 v[120:123], a[22:23], v[86:87], v[120:123]// 00000000D730: D3D70078 0DE2AD16
	v_mfma_i32_16x16x32_i8 v[124:127], a[24:25], v[80:81], 0   // 00000000D738: D3D7007C 0A02A118
	v_mfma_i32_16x16x32_i8 v[124:127], a[26:27], v[82:83], v[124:127]// 00000000D740: D3D7007C 0DF2A51A
	v_mfma_i32_16x16x32_i8 v[124:127], a[28:29], v[84:85], v[124:127]// 00000000D748: D3D7007C 0DF2A91C
	v_mfma_i32_16x16x32_i8 v[124:127], a[30:31], v[86:87], v[124:127]// 00000000D750: D3D7007C 0DF2AD1E
	v_mfma_i32_16x16x32_i8 v[128:131], a[0:1], v[88:89], 0     // 00000000D758: D3D70080 0A02B100
	v_mfma_i32_16x16x32_i8 v[128:131], a[2:3], v[90:91], v[128:131]// 00000000D760: D3D70080 0E02B502
	v_mfma_i32_16x16x32_i8 v[128:131], a[4:5], v[92:93], v[128:131]// 00000000D768: D3D70080 0E02B904
	v_mfma_i32_16x16x32_i8 v[128:131], a[6:7], v[94:95], v[128:131]// 00000000D770: D3D70080 0E02BD06
	v_mfma_i32_16x16x32_i8 v[132:135], a[8:9], v[88:89], 0     // 00000000D778: D3D70084 0A02B108
	v_mfma_i32_16x16x32_i8 v[132:135], a[10:11], v[90:91], v[132:135]// 00000000D780: D3D70084 0E12B50A
	v_mfma_i32_16x16x32_i8 v[132:135], a[12:13], v[92:93], v[132:135]// 00000000D788: D3D70084 0E12B90C
	v_mfma_i32_16x16x32_i8 v[132:135], a[14:15], v[94:95], v[132:135]// 00000000D790: D3D70084 0E12BD0E
	v_mfma_i32_16x16x32_i8 v[136:139], a[16:17], v[88:89], 0   // 00000000D798: D3D70088 0A02B110
	v_mfma_i32_16x16x32_i8 v[136:139], a[18:19], v[90:91], v[136:139]// 00000000D7A0: D3D70088 0E22B512
	v_mfma_i32_16x16x32_i8 v[136:139], a[20:21], v[92:93], v[136:139]// 00000000D7A8: D3D70088 0E22B914
	v_mfma_i32_16x16x32_i8 v[136:139], a[22:23], v[94:95], v[136:139]// 00000000D7B0: D3D70088 0E22BD16
	v_mfma_i32_16x16x32_i8 v[140:143], a[24:25], v[88:89], 0   // 00000000D7B8: D3D7008C 0A02B118
	v_mfma_i32_16x16x32_i8 v[140:143], a[26:27], v[90:91], v[140:143]// 00000000D7C0: D3D7008C 0E32B51A
	v_mfma_i32_16x16x32_i8 v[140:143], a[28:29], v[92:93], v[140:143]// 00000000D7C8: D3D7008C 0E32B91C
	v_mfma_i32_16x16x32_i8 v[140:143], a[30:31], v[94:95], v[140:143]// 00000000D7D0: D3D7008C 0E32BD1E
	v_mov_b32_dpp v64, v42 row_shr:4 row_mask:0xf bank_mask:0xf// 00000000D7D8: 7E8002FA FF01142A
	v_mov_b32_dpp v65, v42 row_shl:4 row_mask:0xf bank_mask:0xf// 00000000D7E0: 7E8202FA FF01042A
	v_cndmask_b32_e64 v248, v42, v64, s[44:45]                 // 00000000D7E8: D10000F8 00B2812A
	v_cndmask_b32_e64 v249, v65, v42, s[44:45]                 // 00000000D7F0: D10000F9 00B25541
	v_mov_b32_dpp v64, v248 row_shr:8 row_mask:0xf bank_mask:0xf// 00000000D7F8: 7E8002FA FF0118F8
	v_mov_b32_dpp v65, v248 row_shl:8 row_mask:0xf bank_mask:0xf// 00000000D800: 7E8202FA FF0108F8
	v_mov_b32_dpp v66, v249 row_shr:8 row_mask:0xf bank_mask:0xf// 00000000D808: 7E8402FA FF0118F9
	v_mov_b32_dpp v67, v249 row_shl:8 row_mask:0xf bank_mask:0xf// 00000000D810: 7E8602FA FF0108F9
	v_mov_b32_e32 v68, v248                                    // 00000000D818: 7E8803F8
	v_mov_b32_e32 v69, v249                                    // 00000000D81C: 7E8A03F9
	v_cndmask_b32_e64 v248, v68, v64, s[42:43]                 // 00000000D820: D10000F8 00AA8144
	v_cndmask_b32_e64 v250, v68, v65, s[78:79]                 // 00000000D828: D10000FA 013A8344
	v_cndmask_b32_e64 v249, v69, v66, s[42:43]                 // 00000000D830: D10000F9 00AA8545
	v_cndmask_b32_e64 v251, v69, v67, s[78:79]                 // 00000000D838: D10000FB 013A8745
	v_mov_b32_dpp v64, v57 row_shr:4 row_mask:0xf bank_mask:0xf// 00000000D840: 7E8002FA FF011439
	v_mov_b32_dpp v65, v57 row_shl:4 row_mask:0xf bank_mask:0xf// 00000000D848: 7E8202FA FF010439
	v_cndmask_b32_e64 v252, v57, v64, s[44:45]                 // 00000000D850: D10000FC 00B28139
	v_cndmask_b32_e64 v253, v65, v57, s[44:45]                 // 00000000D858: D10000FD 00B27341
	v_mov_b32_dpp v64, v252 row_shr:8 row_mask:0xf bank_mask:0xf// 00000000D860: 7E8002FA FF0118FC
	v_mov_b32_dpp v65, v252 row_shl:8 row_mask:0xf bank_mask:0xf// 00000000D868: 7E8202FA FF0108FC
	v_mov_b32_dpp v66, v253 row_shr:8 row_mask:0xf bank_mask:0xf// 00000000D870: 7E8402FA FF0118FD
	v_mov_b32_dpp v67, v253 row_shl:8 row_mask:0xf bank_mask:0xf// 00000000D878: 7E8602FA FF0108FD
	v_mov_b32_e32 v68, v252                                    // 00000000D880: 7E8803FC
	v_mov_b32_e32 v69, v253                                    // 00000000D884: 7E8A03FD
	v_cndmask_b32_e64 v252, v68, v64, s[42:43]                 // 00000000D888: D10000FC 00AA8144
	v_cndmask_b32_e64 v254, v68, v65, s[78:79]                 // 00000000D890: D10000FE 013A8344
	v_cndmask_b32_e64 v253, v69, v66, s[42:43]                 // 00000000D898: D10000FD 00AA8545
	v_cndmask_b32_e64 v255, v69, v67, s[78:79]                 // 00000000D8A0: D10000FF 013A8745
	v_cvt_f32_i32_e32 v112, v112                               // 00000000D8A8: 7EE00B70
	v_cvt_f32_i32_e32 v113, v113                               // 00000000D8AC: 7EE20B71
	v_cvt_f32_i32_e32 v114, v114                               // 00000000D8B0: 7EE40B72
	v_cvt_f32_i32_e32 v115, v115                               // 00000000D8B4: 7EE60B73
	v_cvt_f32_i32_e32 v116, v116                               // 00000000D8B8: 7EE80B74
	v_cvt_f32_i32_e32 v117, v117                               // 00000000D8BC: 7EEA0B75
	v_cvt_f32_i32_e32 v118, v118                               // 00000000D8C0: 7EEC0B76
	v_cvt_f32_i32_e32 v119, v119                               // 00000000D8C4: 7EEE0B77
	v_cvt_f32_i32_e32 v120, v120                               // 00000000D8C8: 7EF00B78
	v_cvt_f32_i32_e32 v121, v121                               // 00000000D8CC: 7EF20B79
	v_cvt_f32_i32_e32 v122, v122                               // 00000000D8D0: 7EF40B7A
	v_cvt_f32_i32_e32 v123, v123                               // 00000000D8D4: 7EF60B7B
	v_cvt_f32_i32_e32 v124, v124                               // 00000000D8D8: 7EF80B7C
	v_cvt_f32_i32_e32 v125, v125                               // 00000000D8DC: 7EFA0B7D
	v_cvt_f32_i32_e32 v126, v126                               // 00000000D8E0: 7EFC0B7E
	v_cvt_f32_i32_e32 v127, v127                               // 00000000D8E4: 7EFE0B7F
	v_mul_f32_e32 v112, v18, v112                              // 00000000D8E8: 0AE0E112
	v_mul_f32_e32 v113, v18, v113                              // 00000000D8EC: 0AE2E312
	v_mul_f32_e32 v114, v18, v114                              // 00000000D8F0: 0AE4E512
	v_mul_f32_e32 v115, v18, v115                              // 00000000D8F4: 0AE6E712
	v_mul_f32_e32 v116, v18, v116                              // 00000000D8F8: 0AE8E912
	v_mul_f32_e32 v117, v18, v117                              // 00000000D8FC: 0AEAEB12
	v_mul_f32_e32 v118, v18, v118                              // 00000000D900: 0AECED12
	v_mul_f32_e32 v119, v18, v119                              // 00000000D904: 0AEEEF12
	v_mul_f32_e32 v120, v18, v120                              // 00000000D908: 0AF0F112
	v_mul_f32_e32 v121, v18, v121                              // 00000000D90C: 0AF2F312
	v_mul_f32_e32 v122, v18, v122                              // 00000000D910: 0AF4F512
	v_mul_f32_e32 v123, v18, v123                              // 00000000D914: 0AF6F712
	v_mul_f32_e32 v124, v18, v124                              // 00000000D918: 0AF8F912
	v_mul_f32_e32 v125, v18, v125                              // 00000000D91C: 0AFAFB12
	v_mul_f32_e32 v126, v18, v126                              // 00000000D920: 0AFCFD12
	v_mul_f32_e32 v127, v18, v127                              // 00000000D924: 0AFEFF12
	v_mul_f32_dpp v112, v248, v112 quad_perm:[0,0,0,0] row_mask:0xf bank_mask:0xf// 00000000D928: 0AE0E0FA FF0000F8
	v_mul_f32_dpp v113, v248, v113 quad_perm:[1,1,1,1] row_mask:0xf bank_mask:0xf// 00000000D930: 0AE2E2FA FF0055F8
	v_mul_f32_dpp v114, v248, v114 quad_perm:[2,2,2,2] row_mask:0xf bank_mask:0xf// 00000000D938: 0AE4E4FA FF00AAF8
	v_mul_f32_dpp v115, v248, v115 quad_perm:[3,3,3,3] row_mask:0xf bank_mask:0xf// 00000000D940: 0AE6E6FA FF00FFF8
	v_mul_f32_dpp v116, v249, v116 quad_perm:[0,0,0,0] row_mask:0xf bank_mask:0xf// 00000000D948: 0AE8E8FA FF0000F9
	v_mul_f32_dpp v117, v249, v117 quad_perm:[1,1,1,1] row_mask:0xf bank_mask:0xf// 00000000D950: 0AEAEAFA FF0055F9
	v_mul_f32_dpp v118, v249, v118 quad_perm:[2,2,2,2] row_mask:0xf bank_mask:0xf// 00000000D958: 0AECECFA FF00AAF9
	v_mul_f32_dpp v119, v249, v119 quad_perm:[3,3,3,3] row_mask:0xf bank_mask:0xf// 00000000D960: 0AEEEEFA FF00FFF9
	v_mul_f32_dpp v120, v250, v120 quad_perm:[0,0,0,0] row_mask:0xf bank_mask:0xf// 00000000D968: 0AF0F0FA FF0000FA
	v_mul_f32_dpp v121, v250, v121 quad_perm:[1,1,1,1] row_mask:0xf bank_mask:0xf// 00000000D970: 0AF2F2FA FF0055FA
	v_mul_f32_dpp v122, v250, v122 quad_perm:[2,2,2,2] row_mask:0xf bank_mask:0xf// 00000000D978: 0AF4F4FA FF00AAFA
	v_mul_f32_dpp v123, v250, v123 quad_perm:[3,3,3,3] row_mask:0xf bank_mask:0xf// 00000000D980: 0AF6F6FA FF00FFFA
	v_mul_f32_dpp v124, v251, v124 quad_perm:[0,0,0,0] row_mask:0xf bank_mask:0xf// 00000000D988: 0AF8F8FA FF0000FB
	v_mul_f32_dpp v125, v251, v125 quad_perm:[1,1,1,1] row_mask:0xf bank_mask:0xf// 00000000D990: 0AFAFAFA FF0055FB
	v_mul_f32_dpp v126, v251, v126 quad_perm:[2,2,2,2] row_mask:0xf bank_mask:0xf// 00000000D998: 0AFCFCFA FF00AAFB
	v_mul_f32_dpp v127, v251, v127 quad_perm:[3,3,3,3] row_mask:0xf bank_mask:0xf// 00000000D9A0: 0AFEFEFA FF00FFFB
	s_cmp_le_i32 s90, s89                                      // 00000000D9A8: BF05595A
	s_cbranch_scc1 label_2E5D                                  // 00000000D9AC: BF850071
	v_mov_b32_e32 v66, 0xff800000                              // 00000000D9B0: 7E8402FF FF800000
	s_mov_b32 s60, s90                                         // 00000000D9B8: BEBC005A
	s_add_u32 s61, s89, 0xff                                   // 00000000D9BC: 803DFF59 000000FF
	v_mov_b32_e32 v64, s61                                     // 00000000D9C4: 7E80023D
	v_lshrrev_b32_e32 v240, 4, v0                              // 00000000D9C8: 21E00084
	v_mul_i32_i24_e32 v240, 4, v240                            // 00000000D9CC: 0DE1E084
	v_add_u32_e32 v240, s60, v240                              // 00000000D9D0: 69E1E03C
	s_mov_b32 s61, 0                                           // 00000000D9D4: BEBD0080
	s_mul_i32 s60, 16, s7                                      // 00000000D9D8: 923C0790
	v_sub_u32_e64 v240, v240, s61                              // 00000000D9DC: D13500F0 00007BF0
	v_add_u32_e32 v240, s60, v240                              // 00000000D9E4: 69E1E03C
	v_add_u32_e32 v241, 1, v240                                // 00000000D9E8: 69E3E081
	v_add_u32_e32 v242, 2, v240                                // 00000000D9EC: 69E5E082
	v_add_u32_e32 v243, 3, v240                                // 00000000D9F0: 69E7E083
	v_cmp_le_u32_e64 s[40:41], v240, v64                       // 00000000D9F4: D0CB0028 000281F0
	v_add_u32_e32 v240, 64, v240                               // 00000000D9FC: 69E1E0C0
	s_nop 0                                                    // 00000000DA00: BF800000
	v_cndmask_b32_e64 v112, v66, v112, s[40:41]                // 00000000DA04: D1000070 00A2E142
	v_cmp_le_u32_e64 s[40:41], v241, v64                       // 00000000DA0C: D0CB0028 000281F1
	v_add_u32_e32 v241, 64, v241                               // 00000000DA14: 69E3E2C0
	s_nop 0                                                    // 00000000DA18: BF800000
	v_cndmask_b32_e64 v113, v66, v113, s[40:41]                // 00000000DA1C: D1000071 00A2E342
	v_cmp_le_u32_e64 s[40:41], v242, v64                       // 00000000DA24: D0CB0028 000281F2
	v_add_u32_e32 v242, 64, v242                               // 00000000DA2C: 69E5E4C0
	s_nop 0                                                    // 00000000DA30: BF800000
	v_cndmask_b32_e64 v114, v66, v114, s[40:41]                // 00000000DA34: D1000072 00A2E542
	v_cmp_le_u32_e64 s[40:41], v243, v64                       // 00000000DA3C: D0CB0028 000281F3
	v_add_u32_e32 v243, 64, v243                               // 00000000DA44: 69E7E6C0
	s_nop 0                                                    // 00000000DA48: BF800000
	v_cndmask_b32_e64 v115, v66, v115, s[40:41]                // 00000000DA4C: D1000073 00A2E742
	v_cmp_le_u32_e64 s[40:41], v240, v64                       // 00000000DA54: D0CB0028 000281F0
	v_add_u32_e32 v240, 64, v240                               // 00000000DA5C: 69E1E0C0
	s_nop 0                                                    // 00000000DA60: BF800000
	v_cndmask_b32_e64 v116, v66, v116, s[40:41]                // 00000000DA64: D1000074 00A2E942
	v_cmp_le_u32_e64 s[40:41], v241, v64                       // 00000000DA6C: D0CB0028 000281F1
	v_add_u32_e32 v241, 64, v241                               // 00000000DA74: 69E3E2C0
	s_nop 0                                                    // 00000000DA78: BF800000
	v_cndmask_b32_e64 v117, v66, v117, s[40:41]                // 00000000DA7C: D1000075 00A2EB42
	v_cmp_le_u32_e64 s[40:41], v242, v64                       // 00000000DA84: D0CB0028 000281F2
	v_add_u32_e32 v242, 64, v242                               // 00000000DA8C: 69E5E4C0
	s_nop 0                                                    // 00000000DA90: BF800000
	v_cndmask_b32_e64 v118, v66, v118, s[40:41]                // 00000000DA94: D1000076 00A2ED42
	v_cmp_le_u32_e64 s[40:41], v243, v64                       // 00000000DA9C: D0CB0028 000281F3
	v_add_u32_e32 v243, 64, v243                               // 00000000DAA4: 69E7E6C0
	s_nop 0                                                    // 00000000DAA8: BF800000
	v_cndmask_b32_e64 v119, v66, v119, s[40:41]                // 00000000DAAC: D1000077 00A2EF42
	v_cmp_le_u32_e64 s[40:41], v240, v64                       // 00000000DAB4: D0CB0028 000281F0
	v_add_u32_e32 v240, 64, v240                               // 00000000DABC: 69E1E0C0
	s_nop 0                                                    // 00000000DAC0: BF800000
	v_cndmask_b32_e64 v120, v66, v120, s[40:41]                // 00000000DAC4: D1000078 00A2F142
	v_cmp_le_u32_e64 s[40:41], v241, v64                       // 00000000DACC: D0CB0028 000281F1
	v_add_u32_e32 v241, 64, v241                               // 00000000DAD4: 69E3E2C0
	s_nop 0                                                    // 00000000DAD8: BF800000
	v_cndmask_b32_e64 v121, v66, v121, s[40:41]                // 00000000DADC: D1000079 00A2F342
	v_cmp_le_u32_e64 s[40:41], v242, v64                       // 00000000DAE4: D0CB0028 000281F2
	v_add_u32_e32 v242, 64, v242                               // 00000000DAEC: 69E5E4C0
	s_nop 0                                                    // 00000000DAF0: BF800000
	v_cndmask_b32_e64 v122, v66, v122, s[40:41]                // 00000000DAF4: D100007A 00A2F542
	v_cmp_le_u32_e64 s[40:41], v243, v64                       // 00000000DAFC: D0CB0028 000281F3
	v_add_u32_e32 v243, 64, v243                               // 00000000DB04: 69E7E6C0
	s_nop 0                                                    // 00000000DB08: BF800000
	v_cndmask_b32_e64 v123, v66, v123, s[40:41]                // 00000000DB0C: D100007B 00A2F742
	v_cmp_le_u32_e64 s[40:41], v240, v64                       // 00000000DB14: D0CB0028 000281F0
	v_add_u32_e32 v240, 64, v240                               // 00000000DB1C: 69E1E0C0
	s_nop 0                                                    // 00000000DB20: BF800000
	v_cndmask_b32_e64 v124, v66, v124, s[40:41]                // 00000000DB24: D100007C 00A2F942
	v_cmp_le_u32_e64 s[40:41], v241, v64                       // 00000000DB2C: D0CB0028 000281F1
	v_add_u32_e32 v241, 64, v241                               // 00000000DB34: 69E3E2C0
	s_nop 0                                                    // 00000000DB38: BF800000
	v_cndmask_b32_e64 v125, v66, v125, s[40:41]                // 00000000DB3C: D100007D 00A2FB42
	v_cmp_le_u32_e64 s[40:41], v242, v64                       // 00000000DB44: D0CB0028 000281F2
	v_add_u32_e32 v242, 64, v242                               // 00000000DB4C: 69E5E4C0
	s_nop 0                                                    // 00000000DB50: BF800000
	v_cndmask_b32_e64 v126, v66, v126, s[40:41]                // 00000000DB54: D100007E 00A2FD42
	v_cmp_le_u32_e64 s[40:41], v243, v64                       // 00000000DB5C: D0CB0028 000281F3
	v_add_u32_e32 v243, 64, v243                               // 00000000DB64: 69E7E6C0
	s_nop 0                                                    // 00000000DB68: BF800000
	v_cndmask_b32_e64 v127, v66, v127, s[40:41]                // 00000000DB6C: D100007F 00A2FF42

000000000000db74 <label_2E5D>:
	s_and_b32 s60, s72, 0xff                                   // 00000000DB74: 863CFF48 000000FF
	v_mov_b32_e32 v65, s60                                     // 00000000DB7C: 7E82023C
	v_lshrrev_b32_e32 v240, 4, v0                              // 00000000DB80: 21E00084
	v_mul_i32_i24_e32 v240, 4, v240                            // 00000000DB84: 0DE1E084
	s_mul_i32 s60, s7, 16                                      // 00000000DB88: 923C9007
	v_add_u32_e32 v240, s60, v240                              // 00000000DB8C: 69E1E03C
	v_add_u32_e32 v241, 1, v240                                // 00000000DB90: 69E3E081
	v_add_u32_e32 v242, 2, v240                                // 00000000DB94: 69E5E082
	v_add_u32_e32 v243, 3, v240                                // 00000000DB98: 69E7E083
	v_mov_b32_e32 v64, 0xff800000                              // 00000000DB9C: 7E8002FF FF800000
	v_cmp_lt_u32_e64 s[40:41], v240, v65                       // 00000000DBA4: D0C90028 000283F0
	v_add_u32_e32 v240, 64, v240                               // 00000000DBAC: 69E1E0C0
	s_nop 0                                                    // 00000000DBB0: BF800000
	v_cndmask_b32_e64 v112, v64, v112, s[40:41]                // 00000000DBB4: D1000070 00A2E140
	v_cmp_lt_u32_e64 s[40:41], v241, v65                       // 00000000DBBC: D0C90028 000283F1
	v_add_u32_e32 v241, 64, v241                               // 00000000DBC4: 69E3E2C0
	s_nop 0                                                    // 00000000DBC8: BF800000
	v_cndmask_b32_e64 v113, v64, v113, s[40:41]                // 00000000DBCC: D1000071 00A2E340
	v_cmp_lt_u32_e64 s[40:41], v242, v65                       // 00000000DBD4: D0C90028 000283F2
	v_add_u32_e32 v242, 64, v242                               // 00000000DBDC: 69E5E4C0
	s_nop 0                                                    // 00000000DBE0: BF800000
	v_cndmask_b32_e64 v114, v64, v114, s[40:41]                // 00000000DBE4: D1000072 00A2E540
	v_cmp_lt_u32_e64 s[40:41], v243, v65                       // 00000000DBEC: D0C90028 000283F3
	v_add_u32_e32 v243, 64, v243                               // 00000000DBF4: 69E7E6C0
	s_nop 0                                                    // 00000000DBF8: BF800000
	v_cndmask_b32_e64 v115, v64, v115, s[40:41]                // 00000000DBFC: D1000073 00A2E740
	v_cmp_lt_u32_e64 s[40:41], v240, v65                       // 00000000DC04: D0C90028 000283F0
	v_add_u32_e32 v240, 64, v240                               // 00000000DC0C: 69E1E0C0
	s_nop 0                                                    // 00000000DC10: BF800000
	v_cndmask_b32_e64 v116, v64, v116, s[40:41]                // 00000000DC14: D1000074 00A2E940
	v_cmp_lt_u32_e64 s[40:41], v241, v65                       // 00000000DC1C: D0C90028 000283F1
	v_add_u32_e32 v241, 64, v241                               // 00000000DC24: 69E3E2C0
	s_nop 0                                                    // 00000000DC28: BF800000
	v_cndmask_b32_e64 v117, v64, v117, s[40:41]                // 00000000DC2C: D1000075 00A2EB40
	v_cmp_lt_u32_e64 s[40:41], v242, v65                       // 00000000DC34: D0C90028 000283F2
	v_add_u32_e32 v242, 64, v242                               // 00000000DC3C: 69E5E4C0
	s_nop 0                                                    // 00000000DC40: BF800000
	v_cndmask_b32_e64 v118, v64, v118, s[40:41]                // 00000000DC44: D1000076 00A2ED40
	v_cmp_lt_u32_e64 s[40:41], v243, v65                       // 00000000DC4C: D0C90028 000283F3
	v_add_u32_e32 v243, 64, v243                               // 00000000DC54: 69E7E6C0
	s_nop 0                                                    // 00000000DC58: BF800000
	v_cndmask_b32_e64 v119, v64, v119, s[40:41]                // 00000000DC5C: D1000077 00A2EF40
	v_cmp_lt_u32_e64 s[40:41], v240, v65                       // 00000000DC64: D0C90028 000283F0
	v_add_u32_e32 v240, 64, v240                               // 00000000DC6C: 69E1E0C0
	s_nop 0                                                    // 00000000DC70: BF800000
	v_cndmask_b32_e64 v120, v64, v120, s[40:41]                // 00000000DC74: D1000078 00A2F140
	v_cmp_lt_u32_e64 s[40:41], v241, v65                       // 00000000DC7C: D0C90028 000283F1
	v_add_u32_e32 v241, 64, v241                               // 00000000DC84: 69E3E2C0
	s_nop 0                                                    // 00000000DC88: BF800000
	v_cndmask_b32_e64 v121, v64, v121, s[40:41]                // 00000000DC8C: D1000079 00A2F340
	v_cmp_lt_u32_e64 s[40:41], v242, v65                       // 00000000DC94: D0C90028 000283F2
	v_add_u32_e32 v242, 64, v242                               // 00000000DC9C: 69E5E4C0
	s_nop 0                                                    // 00000000DCA0: BF800000
	v_cndmask_b32_e64 v122, v64, v122, s[40:41]                // 00000000DCA4: D100007A 00A2F540
	v_cmp_lt_u32_e64 s[40:41], v243, v65                       // 00000000DCAC: D0C90028 000283F3
	v_add_u32_e32 v243, 64, v243                               // 00000000DCB4: 69E7E6C0
	s_nop 0                                                    // 00000000DCB8: BF800000
	v_cndmask_b32_e64 v123, v64, v123, s[40:41]                // 00000000DCBC: D100007B 00A2F740
	v_cmp_lt_u32_e64 s[40:41], v240, v65                       // 00000000DCC4: D0C90028 000283F0
	v_add_u32_e32 v240, 64, v240                               // 00000000DCCC: 69E1E0C0
	s_nop 0                                                    // 00000000DCD0: BF800000
	v_cndmask_b32_e64 v124, v64, v124, s[40:41]                // 00000000DCD4: D100007C 00A2F940
	v_cmp_lt_u32_e64 s[40:41], v241, v65                       // 00000000DCDC: D0C90028 000283F1
	v_add_u32_e32 v241, 64, v241                               // 00000000DCE4: 69E3E2C0
	s_nop 0                                                    // 00000000DCE8: BF800000
	v_cndmask_b32_e64 v125, v64, v125, s[40:41]                // 00000000DCEC: D100007D 00A2FB40
	v_cmp_lt_u32_e64 s[40:41], v242, v65                       // 00000000DCF4: D0C90028 000283F2
	v_add_u32_e32 v242, 64, v242                               // 00000000DCFC: 69E5E4C0
	s_nop 0                                                    // 00000000DD00: BF800000
	v_cndmask_b32_e64 v126, v64, v126, s[40:41]                // 00000000DD04: D100007E 00A2FD40
	v_cmp_lt_u32_e64 s[40:41], v243, v65                       // 00000000DD0C: D0C90028 000283F3
	v_add_u32_e32 v243, 64, v243                               // 00000000DD14: 69E7E6C0
	s_nop 0                                                    // 00000000DD18: BF800000
	v_cndmask_b32_e64 v127, v64, v127, s[40:41]                // 00000000DD1C: D100007F 00A2FF40
	v_mov_b32_e32 v48, v112                                    // 00000000DD24: 7E600370
	v_max3_f32 v48, v112, v113, v48                            // 00000000DD28: D1D30030 04C2E370
	v_max3_f32 v48, v114, v115, v48                            // 00000000DD30: D1D30030 04C2E772
	v_max3_f32 v48, v116, v117, v48                            // 00000000DD38: D1D30030 04C2EB74
	v_max3_f32 v48, v118, v119, v48                            // 00000000DD40: D1D30030 04C2EF76
	v_max3_f32 v48, v120, v121, v48                            // 00000000DD48: D1D30030 04C2F378
	v_max3_f32 v48, v122, v123, v48                            // 00000000DD50: D1D30030 04C2F77A
	v_max3_f32 v48, v124, v125, v48                            // 00000000DD58: D1D30030 04C2FB7C
	v_max3_f32 v48, v126, v127, v48                            // 00000000DD60: D1D30030 04C2FF7E
	ds_write_b32 v8, v48 offset:16896                          // 00000000DD68: D81A4200 00003008
	v_mul_u32_u24_dpp v64, v17, v54 row_newbcast:1 row_mask:0xf bank_mask:0xf// 00000000DD70: 10806CFA FF015111
	v_mul_u32_u24_dpp v65, v17, v54 row_newbcast:5 row_mask:0xf bank_mask:0xf// 00000000DD78: 10826CFA FF015511
	v_mul_u32_u24_dpp v66, v17, v54 row_newbcast:9 row_mask:0xf bank_mask:0xf// 00000000DD80: 10846CFA FF015911
	v_mul_u32_u24_dpp v67, v17, v54 row_newbcast:13 row_mask:0xf bank_mask:0xf// 00000000DD88: 10866CFA FF015D11
	v_add_u32_e32 v34, v64, v6                                 // 00000000DD90: 68440D40
	v_add_u32_e32 v35, v65, v6                                 // 00000000DD94: 68460D41
	v_add_u32_e32 v36, v66, v6                                 // 00000000DD98: 68480D42
	v_add_u32_e32 v37, v67, v6                                 // 00000000DD9C: 684A0D43
	v_mul_f32_e32 v208, v49, v208                              // 00000000DDA0: 0BA1A131
	v_mul_f32_e32 v209, v49, v209                              // 00000000DDA4: 0BA3A331
	v_mul_f32_e32 v210, v49, v210                              // 00000000DDA8: 0BA5A531
	v_mul_f32_e32 v211, v49, v211                              // 00000000DDAC: 0BA7A731
	v_mul_f32_e32 v212, v49, v212                              // 00000000DDB0: 0BA9A931
	v_mul_f32_e32 v213, v49, v213                              // 00000000DDB4: 0BABAB31
	v_mul_f32_e32 v214, v49, v214                              // 00000000DDB8: 0BADAD31
	v_mul_f32_e32 v215, v49, v215                              // 00000000DDBC: 0BAFAF31
	s_waitcnt lgkmcnt(0)                                       // 00000000DDC0: BF8CC07F
	s_barrier                                                  // 00000000DDC4: BF8A0000
	ds_read_b32 v64, v7 offset:16896                           // 00000000DDC8: D86C4200 40000007
	ds_read_b32 v65, v7 offset:16960                           // 00000000DDD0: D86C4240 41000007
	ds_read_b32 v66, v7 offset:17024                           // 00000000DDD8: D86C4280 42000007
	ds_read_b32 v67, v7 offset:17088                           // 00000000DDE0: D86C42C0 43000007
	ds_read_b32 v68, v7 offset:17152                           // 00000000DDE8: D86C4300 44000007
	ds_read_b32 v69, v7 offset:17216                           // 00000000DDF0: D86C4340 45000007
	ds_read_b32 v70, v7 offset:17280                           // 00000000DDF8: D86C4380 46000007
	ds_read_b32 v71, v7 offset:17344                           // 00000000DE00: D86C43C0 47000007
	ds_read_b32 v72, v7 offset:17408                           // 00000000DE08: D86C4400 48000007
	ds_read_b32 v73, v7 offset:17472                           // 00000000DE10: D86C4440 49000007
	ds_read_b32 v74, v7 offset:17536                           // 00000000DE18: D86C4480 4A000007
	ds_read_b32 v75, v7 offset:17600                           // 00000000DE20: D86C44C0 4B000007
	ds_read_b32 v76, v7 offset:17664                           // 00000000DE28: D86C4500 4C000007
	ds_read_b32 v77, v7 offset:17728                           // 00000000DE30: D86C4540 4D000007
	ds_read_b32 v78, v7 offset:17792                           // 00000000DE38: D86C4580 4E000007
	ds_read_b32 v79, v7 offset:17856                           // 00000000DE40: D86C45C0 4F000007
	v_cvt_f32_i32_e32 v176, v176                               // 00000000DE48: 7F600BB0
	v_cvt_f32_i32_e32 v177, v177                               // 00000000DE4C: 7F620BB1
	v_cvt_f32_i32_e32 v178, v178                               // 00000000DE50: 7F640BB2
	v_cvt_f32_i32_e32 v179, v179                               // 00000000DE54: 7F660BB3
	v_cvt_f32_i32_e32 v180, v180                               // 00000000DE58: 7F680BB4
	v_cvt_f32_i32_e32 v181, v181                               // 00000000DE5C: 7F6A0BB5
	v_cvt_f32_i32_e32 v182, v182                               // 00000000DE60: 7F6C0BB6
	v_cvt_f32_i32_e32 v183, v183                               // 00000000DE64: 7F6E0BB7
	v_mul_f32_e32 v176, v44, v176                              // 00000000DE68: 0B61612C
	v_mul_f32_e32 v177, v44, v177                              // 00000000DE6C: 0B63632C
	v_mul_f32_e32 v178, v44, v178                              // 00000000DE70: 0B65652C
	v_mul_f32_e32 v179, v44, v179                              // 00000000DE74: 0B67672C
	v_mul_f32_e32 v180, v44, v180                              // 00000000DE78: 0B69692C
	v_mul_f32_e32 v181, v44, v181                              // 00000000DE7C: 0B6B6B2C
	v_mul_f32_e32 v182, v44, v182                              // 00000000DE80: 0B6D6D2C
	v_mul_f32_e32 v183, v44, v183                              // 00000000DE84: 0B6F6F2C
	s_waitcnt lgkmcnt(0)                                       // 00000000DE88: BF8CC07F
	v_max3_f32 v48, v64, v65, v48                              // 00000000DE8C: D1D30030 04C28340
	v_max3_f32 v48, v66, v67, v48                              // 00000000DE94: D1D30030 04C28742
	v_max3_f32 v48, v68, v69, v48                              // 00000000DE9C: D1D30030 04C28B44
	v_max3_f32 v48, v70, v71, v48                              // 00000000DEA4: D1D30030 04C28F46
	v_max3_f32 v48, v72, v73, v48                              // 00000000DEAC: D1D30030 04C29348
	v_max3_f32 v48, v74, v75, v48                              // 00000000DEB4: D1D30030 04C2974A
	v_max3_f32 v48, v76, v77, v48                              // 00000000DEBC: D1D30030 04C29B4C
	v_max3_f32 v48, v78, v79, v48                              // 00000000DEC4: D1D30030 04C29F4E
	v_mov_b32_e32 v64, 0xff800000                              // 00000000DECC: 7E8002FF FF800000
	v_cmp_eq_u32_e64 s[40:41], v64, v11                        // 00000000DED4: D0CA0028 00021740
	s_nop 1                                                    // 00000000DEDC: BF800001
	v_max_f32_e32 v15, v48, v11                                // 00000000DEE0: 161E1730
	v_mul_f32_e32 v53, s64, v15                                // 00000000DEE4: 0A6A1E40
	v_fma_f32 v112, v112, s64, -v53                            // 00000000DEE8: D1CB0070 84D48170
	v_fma_f32 v113, v113, s64, -v53                            // 00000000DEF0: D1CB0071 84D48171
	v_fma_f32 v114, v114, s64, -v53                            // 00000000DEF8: D1CB0072 84D48172
	v_fma_f32 v115, v115, s64, -v53                            // 00000000DF00: D1CB0073 84D48173
	v_fma_f32 v116, v116, s64, -v53                            // 00000000DF08: D1CB0074 84D48174
	v_fma_f32 v117, v117, s64, -v53                            // 00000000DF10: D1CB0075 84D48175
	v_fma_f32 v118, v118, s64, -v53                            // 00000000DF18: D1CB0076 84D48176
	v_fma_f32 v119, v119, s64, -v53                            // 00000000DF20: D1CB0077 84D48177
	v_fma_f32 v120, v120, s64, -v53                            // 00000000DF28: D1CB0078 84D48178
	v_fma_f32 v121, v121, s64, -v53                            // 00000000DF30: D1CB0079 84D48179
	v_fma_f32 v122, v122, s64, -v53                            // 00000000DF38: D1CB007A 84D4817A
	v_fma_f32 v123, v123, s64, -v53                            // 00000000DF40: D1CB007B 84D4817B
	v_fma_f32 v124, v124, s64, -v53                            // 00000000DF48: D1CB007C 84D4817C
	v_fma_f32 v125, v125, s64, -v53                            // 00000000DF50: D1CB007D 84D4817D
	v_fma_f32 v126, v126, s64, -v53                            // 00000000DF58: D1CB007E 84D4817E
	v_fma_f32 v127, v127, s64, -v53                            // 00000000DF60: D1CB007F 84D4817F
	v_exp_f32_e32 v112, v112                                   // 00000000DF68: 7EE04170
	v_exp_f32_e32 v113, v113                                   // 00000000DF6C: 7EE24171
	v_exp_f32_e32 v114, v114                                   // 00000000DF70: 7EE44172
	v_exp_f32_e32 v115, v115                                   // 00000000DF74: 7EE64173
	v_exp_f32_e32 v116, v116                                   // 00000000DF78: 7EE84174
	v_exp_f32_e32 v117, v117                                   // 00000000DF7C: 7EEA4175
	v_exp_f32_e32 v118, v118                                   // 00000000DF80: 7EEC4176
	v_exp_f32_e32 v119, v119                                   // 00000000DF84: 7EEE4177
	v_exp_f32_e32 v120, v120                                   // 00000000DF88: 7EF04178
	v_exp_f32_e32 v121, v121                                   // 00000000DF8C: 7EF24179
	v_exp_f32_e32 v122, v122                                   // 00000000DF90: 7EF4417A
	v_exp_f32_e32 v123, v123                                   // 00000000DF94: 7EF6417B
	v_exp_f32_e32 v124, v124                                   // 00000000DF98: 7EF8417C
	v_exp_f32_e32 v125, v125                                   // 00000000DF9C: 7EFA417D
	v_exp_f32_e32 v126, v126                                   // 00000000DFA0: 7EFC417E
	v_exp_f32_e32 v127, v127                                   // 00000000DFA4: 7EFE417F
	v_mul_f32_dpp v240, v252, v112 quad_perm:[0,0,0,0] row_mask:0xf bank_mask:0xf// 00000000DFA8: 0BE0E0FA FF0000FC
	v_mul_f32_dpp v241, v252, v113 quad_perm:[1,1,1,1] row_mask:0xf bank_mask:0xf// 00000000DFB0: 0BE2E2FA FF0055FC
	v_mul_f32_dpp v242, v252, v114 quad_perm:[2,2,2,2] row_mask:0xf bank_mask:0xf// 00000000DFB8: 0BE4E4FA FF00AAFC
	v_mul_f32_dpp v243, v252, v115 quad_perm:[3,3,3,3] row_mask:0xf bank_mask:0xf// 00000000DFC0: 0BE6E6FA FF00FFFC
	v_mul_f32_dpp v244, v253, v116 quad_perm:[0,0,0,0] row_mask:0xf bank_mask:0xf// 00000000DFC8: 0BE8E8FA FF0000FD
	v_mul_f32_dpp v245, v253, v117 quad_perm:[1,1,1,1] row_mask:0xf bank_mask:0xf// 00000000DFD0: 0BEAEAFA FF0055FD
	v_mul_f32_dpp v246, v253, v118 quad_perm:[2,2,2,2] row_mask:0xf bank_mask:0xf// 00000000DFD8: 0BECECFA FF00AAFD
	v_mul_f32_dpp v247, v253, v119 quad_perm:[3,3,3,3] row_mask:0xf bank_mask:0xf// 00000000DFE0: 0BEEEEFA FF00FFFD
	v_mul_f32_dpp v248, v254, v120 quad_perm:[0,0,0,0] row_mask:0xf bank_mask:0xf// 00000000DFE8: 0BF0F0FA FF0000FE
	v_mul_f32_dpp v249, v254, v121 quad_perm:[1,1,1,1] row_mask:0xf bank_mask:0xf// 00000000DFF0: 0BF2F2FA FF0055FE
	v_mul_f32_dpp v250, v254, v122 quad_perm:[2,2,2,2] row_mask:0xf bank_mask:0xf// 00000000DFF8: 0BF4F4FA FF00AAFE
	v_mul_f32_dpp v251, v254, v123 quad_perm:[3,3,3,3] row_mask:0xf bank_mask:0xf// 00000000E000: 0BF6F6FA FF00FFFE
	v_mul_f32_dpp v252, v255, v124 quad_perm:[0,0,0,0] row_mask:0xf bank_mask:0xf// 00000000E008: 0BF8F8FA FF0000FF
	v_mul_f32_dpp v253, v255, v125 quad_perm:[1,1,1,1] row_mask:0xf bank_mask:0xf// 00000000E010: 0BFAFAFA FF0055FF
	v_mul_f32_dpp v254, v255, v126 quad_perm:[2,2,2,2] row_mask:0xf bank_mask:0xf// 00000000E018: 0BFCFCFA FF00AAFF
	v_mul_f32_dpp v255, v255, v127 quad_perm:[3,3,3,3] row_mask:0xf bank_mask:0xf// 00000000E020: 0BFEFEFA FF00FFFF
	v_mov_b32_e32 v48, 0x358637bd                              // 00000000E028: 7E6002FF 358637BD
	v_max3_f32 v48, |v240|, |v241|, v48                        // 00000000E030: D1D30330 04C3E3F0
	v_max3_f32 v48, |v242|, |v243|, v48                        // 00000000E038: D1D30330 04C3E7F2
	v_max3_f32 v48, |v244|, |v245|, v48                        // 00000000E040: D1D30330 04C3EBF4
	v_max3_f32 v48, |v246|, |v247|, v48                        // 00000000E048: D1D30330 04C3EFF6
	v_max3_f32 v48, |v248|, |v249|, v48                        // 00000000E050: D1D30330 04C3F3F8
	v_max3_f32 v48, |v250|, |v251|, v48                        // 00000000E058: D1D30330 04C3F7FA
	v_max3_f32 v48, |v252|, |v253|, v48                        // 00000000E060: D1D30330 04C3FBFC
	v_max3_f32 v48, |v254|, |v255|, v48                        // 00000000E068: D1D30330 04C3FFFE
	ds_write_b32 v8, v48 offset:20992                          // 00000000E070: D81A5200 00003008
	v_sub_f32_e32 v49, v11, v15                                // 00000000E078: 04621F0B
	v_cndmask_b32_e64 v49, v49, 0, s[40:41]                    // 00000000E07C: D1000031 00A10131
	v_mov_b32_e32 v11, v15                                     // 00000000E084: 7E16030F
	v_mul_f32_e32 v49, s64, v49                                // 00000000E088: 0A626240
	v_exp_f32_e32 v49, v49                                     // 00000000E08C: 7E624131
	s_waitcnt lgkmcnt(0)                                       // 00000000E090: BF8CC07F
	s_barrier                                                  // 00000000E094: BF8A0000
	ds_read_b32 v64, v7 offset:20992                           // 00000000E098: D86C5200 40000007
	ds_read_b32 v65, v7 offset:21056                           // 00000000E0A0: D86C5240 41000007
	ds_read_b32 v66, v7 offset:21120                           // 00000000E0A8: D86C5280 42000007
	ds_read_b32 v67, v7 offset:21184                           // 00000000E0B0: D86C52C0 43000007
	ds_read_b32 v68, v7 offset:21248                           // 00000000E0B8: D86C5300 44000007
	ds_read_b32 v69, v7 offset:21312                           // 00000000E0C0: D86C5340 45000007
	ds_read_b32 v70, v7 offset:21376                           // 00000000E0C8: D86C5380 46000007
	ds_read_b32 v71, v7 offset:21440                           // 00000000E0D0: D86C53C0 47000007
	ds_read_b32 v72, v7 offset:21504                           // 00000000E0D8: D86C5400 48000007
	ds_read_b32 v73, v7 offset:21568                           // 00000000E0E0: D86C5440 49000007
	ds_read_b32 v74, v7 offset:21632                           // 00000000E0E8: D86C5480 4A000007
	ds_read_b32 v75, v7 offset:21696                           // 00000000E0F0: D86C54C0 4B000007
	ds_read_b32 v76, v7 offset:21760                           // 00000000E0F8: D86C5500 4C000007
	ds_read_b32 v77, v7 offset:21824                           // 00000000E100: D86C5540 4D000007
	ds_read_b32 v78, v7 offset:21888                           // 00000000E108: D86C5580 4E000007
	ds_read_b32 v79, v7 offset:21952                           // 00000000E110: D86C55C0 4F000007
	v_mul_f32_e32 v38, v49, v38                                // 00000000E118: 0A4C4D31
	v_mov_b32_e32 v15, v112                                    // 00000000E11C: 7E1E0370
	v_add_f32_e32 v15, v113, v15                               // 00000000E120: 021E1F71
	v_add_f32_e32 v15, v114, v15                               // 00000000E124: 021E1F72
	v_add_f32_e32 v15, v115, v15                               // 00000000E128: 021E1F73
	v_add_f32_e32 v15, v116, v15                               // 00000000E12C: 021E1F74
	v_add_f32_e32 v15, v117, v15                               // 00000000E130: 021E1F75
	v_add_f32_e32 v15, v118, v15                               // 00000000E134: 021E1F76
	v_add_f32_e32 v15, v119, v15                               // 00000000E138: 021E1F77
	v_add_f32_e32 v15, v120, v15                               // 00000000E13C: 021E1F78
	v_add_f32_e32 v15, v121, v15                               // 00000000E140: 021E1F79
	v_add_f32_e32 v15, v122, v15                               // 00000000E144: 021E1F7A
	v_add_f32_e32 v15, v123, v15                               // 00000000E148: 021E1F7B
	v_add_f32_e32 v15, v124, v15                               // 00000000E14C: 021E1F7C
	v_add_f32_e32 v15, v125, v15                               // 00000000E150: 021E1F7D
	v_add_f32_e32 v15, v126, v15                               // 00000000E154: 021E1F7E
	v_add_f32_e32 v15, v127, v15                               // 00000000E158: 021E1F7F
	v_add_f32_e32 v38, v15, v38                                // 00000000E15C: 024C4D0F
	s_waitcnt lgkmcnt(0)                                       // 00000000E160: BF8CC07F
	v_max3_f32 v48, |v64|, |v65|, v48                          // 00000000E164: D1D30330 04C28340
	v_max3_f32 v48, |v66|, |v67|, v48                          // 00000000E16C: D1D30330 04C28742
	v_max3_f32 v48, |v68|, |v69|, v48                          // 00000000E174: D1D30330 04C28B44
	v_max3_f32 v48, |v70|, |v71|, v48                          // 00000000E17C: D1D30330 04C28F46
	v_max3_f32 v48, |v72|, |v73|, v48                          // 00000000E184: D1D30330 04C29348
	v_max3_f32 v48, |v74|, |v75|, v48                          // 00000000E18C: D1D30330 04C2974A
	v_max3_f32 v48, |v76|, |v77|, v48                          // 00000000E194: D1D30330 04C29B4C
	v_max3_f32 v48, |v78|, |v79|, v48                          // 00000000E19C: D1D30330 04C29F4E
	s_nop 2                                                    // 00000000E1A4: BF800002
	v_rcp_f32_e32 v48, v48                                     // 00000000E1A8: 7E604530
	s_nop 1                                                    // 00000000E1AC: BF800001
	v_mul_f32_e32 v48, 0x42fe0000, v48                         // 00000000E1B0: 0A6060FF 42FE0000
	v_mul_f32_e32 v112, v48, v240                              // 00000000E1B8: 0AE1E130
	v_mul_f32_e32 v113, v48, v241                              // 00000000E1BC: 0AE3E330
	v_mul_f32_e32 v114, v48, v242                              // 00000000E1C0: 0AE5E530
	v_mul_f32_e32 v115, v48, v243                              // 00000000E1C4: 0AE7E730
	v_mul_f32_e32 v116, v48, v244                              // 00000000E1C8: 0AE9E930
	v_mul_f32_e32 v117, v48, v245                              // 00000000E1CC: 0AEBEB30
	v_mul_f32_e32 v118, v48, v246                              // 00000000E1D0: 0AEDED30
	v_mul_f32_e32 v119, v48, v247                              // 00000000E1D4: 0AEFEF30
	v_mul_f32_e32 v120, v48, v248                              // 00000000E1D8: 0AF1F130
	v_mul_f32_e32 v121, v48, v249                              // 00000000E1DC: 0AF3F330
	v_mul_f32_e32 v122, v48, v250                              // 00000000E1E0: 0AF5F530
	v_mul_f32_e32 v123, v48, v251                              // 00000000E1E4: 0AF7F730
	v_mul_f32_e32 v124, v48, v252                              // 00000000E1E8: 0AF9F930
	v_mul_f32_e32 v125, v48, v253                              // 00000000E1EC: 0AFBFB30
	v_mul_f32_e32 v126, v48, v254                              // 00000000E1F0: 0AFDFD30
	v_mul_f32_e32 v127, v48, v255                              // 00000000E1F4: 0AFFFF30
	v_cvt_i32_f32_e32 v112, v112                               // 00000000E1F8: 7EE01170
	v_cvt_i32_f32_e32 v113, v113                               // 00000000E1FC: 7EE21171
	v_cvt_i32_f32_e32 v114, v114                               // 00000000E200: 7EE41172
	v_cvt_i32_f32_e32 v115, v115                               // 00000000E204: 7EE61173
	v_cvt_i32_f32_e32 v116, v116                               // 00000000E208: 7EE81174
	v_cvt_i32_f32_e32 v117, v117                               // 00000000E20C: 7EEA1175
	v_cvt_i32_f32_e32 v118, v118                               // 00000000E210: 7EEC1176
	v_cvt_i32_f32_e32 v119, v119                               // 00000000E214: 7EEE1177
	v_cvt_i32_f32_e32 v120, v120                               // 00000000E218: 7EF01178
	v_cvt_i32_f32_e32 v121, v121                               // 00000000E21C: 7EF21179
	v_cvt_i32_f32_e32 v122, v122                               // 00000000E220: 7EF4117A
	v_cvt_i32_f32_e32 v123, v123                               // 00000000E224: 7EF6117B
	v_cvt_i32_f32_e32 v124, v124                               // 00000000E228: 7EF8117C
	v_cvt_i32_f32_e32 v125, v125                               // 00000000E22C: 7EFA117D
	v_cvt_i32_f32_e32 v126, v126                               // 00000000E230: 7EFC117E
	v_cvt_i32_f32_e32 v127, v127                               // 00000000E234: 7EFE117F
	v_perm_b32 v112, v113, v112, s53                           // 00000000E238: D1ED0070 00D6E171
	v_perm_b32 v112, v114, v112, s54                           // 00000000E240: D1ED0070 00DAE172
	v_perm_b32 v112, v115, v112, s55                           // 00000000E248: D1ED0070 00DEE173
	v_perm_b32 v113, v117, v116, s53                           // 00000000E250: D1ED0071 00D6E975
	v_perm_b32 v113, v118, v113, s54                           // 00000000E258: D1ED0071 00DAE376
	v_perm_b32 v113, v119, v113, s55                           // 00000000E260: D1ED0071 00DEE377
	v_perm_b32 v114, v121, v120, s53                           // 00000000E268: D1ED0072 00D6F179
	v_perm_b32 v114, v122, v114, s54                           // 00000000E270: D1ED0072 00DAE57A
	v_perm_b32 v114, v123, v114, s55                           // 00000000E278: D1ED0072 00DEE57B
	v_perm_b32 v115, v125, v124, s53                           // 00000000E280: D1ED0073 00D6F97D
	v_perm_b32 v115, v126, v115, s54                           // 00000000E288: D1ED0073 00DAE77E
	v_perm_b32 v115, v127, v115, s55                           // 00000000E290: D1ED0073 00DEE77F
	ds_write_b32 v10, v112 offset:25088                        // 00000000E298: D81A6200 0000700A
	ds_write_b32 v10, v113 offset:26112                        // 00000000E2A0: D81A6600 0000710A
	ds_write_b32 v10, v114 offset:27136                        // 00000000E2A8: D81A6A00 0000720A
	ds_write_b32 v10, v115 offset:28160                        // 00000000E2B0: D81A6E00 0000730A
	v_add_f32_e32 v208, v208, v176                             // 00000000E2B8: 03A161D0
	v_add_f32_e32 v209, v209, v177                             // 00000000E2BC: 03A363D1
	v_add_f32_e32 v210, v210, v178                             // 00000000E2C0: 03A565D2
	v_add_f32_e32 v211, v211, v179                             // 00000000E2C4: 03A767D3
	v_add_f32_e32 v212, v212, v180                             // 00000000E2C8: 03A969D4
	v_add_f32_e32 v213, v213, v181                             // 00000000E2CC: 03AB6BD5
	v_add_f32_e32 v214, v214, v182                             // 00000000E2D0: 03AD6DD6
	v_add_f32_e32 v215, v215, v183                             // 00000000E2D4: 03AF6FD7
	v_rcp_f32_e32 v44, v48                                     // 00000000E2D8: 7E584530
	s_waitcnt lgkmcnt(0)                                       // 00000000E2DC: BF8CC07F
	s_barrier                                                  // 00000000E2E0: BF8A0000
	ds_read_b64 v[112:113], v9 offset:25088                    // 00000000E2E4: D8EC6200 70000009
	ds_read_b64 v[114:115], v9 offset:25216                    // 00000000E2EC: D8EC6280 72000009
	ds_read_b64 v[116:117], v9 offset:26112                    // 00000000E2F4: D8EC6600 74000009
	ds_read_b64 v[118:119], v9 offset:26240                    // 00000000E2FC: D8EC6680 76000009
	ds_read_b64 v[120:121], v9 offset:27136                    // 00000000E304: D8EC6A00 78000009
	ds_read_b64 v[122:123], v9 offset:27264                    // 00000000E30C: D8EC6A80 7A000009
	ds_read_b64 v[124:125], v9 offset:28160                    // 00000000E314: D8EC6E00 7C000009
	ds_read_b64 v[126:127], v9 offset:28288                    // 00000000E31C: D8EC6E80 7E000009
	v_mov_b32_dpp v64, v42 row_shr:4 row_mask:0xf bank_mask:0xf// 00000000E324: 7E8002FA FF01142A
	v_mov_b32_dpp v65, v42 row_shl:4 row_mask:0xf bank_mask:0xf// 00000000E32C: 7E8202FA FF01042A
	v_cndmask_b32_e64 v248, v42, v64, s[44:45]                 // 00000000E334: D10000F8 00B2812A
	v_cndmask_b32_e64 v249, v65, v42, s[44:45]                 // 00000000E33C: D10000F9 00B25541
	v_mov_b32_dpp v64, v248 row_shr:8 row_mask:0xf bank_mask:0xf// 00000000E344: 7E8002FA FF0118F8
	v_mov_b32_dpp v65, v248 row_shl:8 row_mask:0xf bank_mask:0xf// 00000000E34C: 7E8202FA FF0108F8
	v_mov_b32_dpp v66, v249 row_shr:8 row_mask:0xf bank_mask:0xf// 00000000E354: 7E8402FA FF0118F9
	v_mov_b32_dpp v67, v249 row_shl:8 row_mask:0xf bank_mask:0xf// 00000000E35C: 7E8602FA FF0108F9
	v_mov_b32_e32 v68, v248                                    // 00000000E364: 7E8803F8
	v_mov_b32_e32 v69, v249                                    // 00000000E368: 7E8A03F9
	v_cndmask_b32_e64 v248, v68, v64, s[42:43]                 // 00000000E36C: D10000F8 00AA8144
	v_cndmask_b32_e64 v250, v68, v65, s[78:79]                 // 00000000E374: D10000FA 013A8344
	v_cndmask_b32_e64 v249, v69, v66, s[42:43]                 // 00000000E37C: D10000F9 00AA8545
	v_cndmask_b32_e64 v251, v69, v67, s[78:79]                 // 00000000E384: D10000FB 013A8745
	v_mov_b32_dpp v64, v57 row_shr:4 row_mask:0xf bank_mask:0xf// 00000000E38C: 7E8002FA FF011439
	v_mov_b32_dpp v65, v57 row_shl:4 row_mask:0xf bank_mask:0xf// 00000000E394: 7E8202FA FF010439
	v_cndmask_b32_e64 v252, v57, v64, s[44:45]                 // 00000000E39C: D10000FC 00B28139
	v_cndmask_b32_e64 v253, v65, v57, s[44:45]                 // 00000000E3A4: D10000FD 00B27341
	v_mov_b32_dpp v64, v252 row_shr:8 row_mask:0xf bank_mask:0xf// 00000000E3AC: 7E8002FA FF0118FC
	v_mov_b32_dpp v65, v252 row_shl:8 row_mask:0xf bank_mask:0xf// 00000000E3B4: 7E8202FA FF0108FC
	v_mov_b32_dpp v66, v253 row_shr:8 row_mask:0xf bank_mask:0xf// 00000000E3BC: 7E8402FA FF0118FD
	v_mov_b32_dpp v67, v253 row_shl:8 row_mask:0xf bank_mask:0xf// 00000000E3C4: 7E8602FA FF0108FD
	v_mov_b32_e32 v68, v252                                    // 00000000E3CC: 7E8803FC
	v_mov_b32_e32 v69, v253                                    // 00000000E3D0: 7E8A03FD
	v_cndmask_b32_e64 v252, v68, v64, s[42:43]                 // 00000000E3D4: D10000FC 00AA8144
	v_cndmask_b32_e64 v254, v68, v65, s[78:79]                 // 00000000E3DC: D10000FE 013A8344
	v_cndmask_b32_e64 v253, v69, v66, s[42:43]                 // 00000000E3E4: D10000FD 00AA8545
	v_cndmask_b32_e64 v255, v69, v67, s[78:79]                 // 00000000E3EC: D10000FF 013A8745
	v_cvt_f32_i32_e32 v128, v128                               // 00000000E3F4: 7F000B80
	v_cvt_f32_i32_e32 v129, v129                               // 00000000E3F8: 7F020B81
	v_cvt_f32_i32_e32 v130, v130                               // 00000000E3FC: 7F040B82
	v_cvt_f32_i32_e32 v131, v131                               // 00000000E400: 7F060B83
	v_cvt_f32_i32_e32 v132, v132                               // 00000000E404: 7F080B84
	v_cvt_f32_i32_e32 v133, v133                               // 00000000E408: 7F0A0B85
	v_cvt_f32_i32_e32 v134, v134                               // 00000000E40C: 7F0C0B86
	v_cvt_f32_i32_e32 v135, v135                               // 00000000E410: 7F0E0B87
	v_cvt_f32_i32_e32 v136, v136                               // 00000000E414: 7F100B88
	v_cvt_f32_i32_e32 v137, v137                               // 00000000E418: 7F120B89
	v_cvt_f32_i32_e32 v138, v138                               // 00000000E41C: 7F140B8A
	v_cvt_f32_i32_e32 v139, v139                               // 00000000E420: 7F160B8B
	v_cvt_f32_i32_e32 v140, v140                               // 00000000E424: 7F180B8C
	v_cvt_f32_i32_e32 v141, v141                               // 00000000E428: 7F1A0B8D
	v_cvt_f32_i32_e32 v142, v142                               // 00000000E42C: 7F1C0B8E
	v_cvt_f32_i32_e32 v143, v143                               // 00000000E430: 7F1E0B8F
	v_mul_f32_e32 v128, v19, v128                              // 00000000E434: 0B010113
	v_mul_f32_e32 v129, v19, v129                              // 00000000E438: 0B030313
	v_mul_f32_e32 v130, v19, v130                              // 00000000E43C: 0B050513
	v_mul_f32_e32 v131, v19, v131                              // 00000000E440: 0B070713
	v_mul_f32_e32 v132, v19, v132                              // 00000000E444: 0B090913
	v_mul_f32_e32 v133, v19, v133                              // 00000000E448: 0B0B0B13
	v_mul_f32_e32 v134, v19, v134                              // 00000000E44C: 0B0D0D13
	v_mul_f32_e32 v135, v19, v135                              // 00000000E450: 0B0F0F13
	v_mul_f32_e32 v136, v19, v136                              // 00000000E454: 0B111113
	v_mul_f32_e32 v137, v19, v137                              // 00000000E458: 0B131313
	v_mul_f32_e32 v138, v19, v138                              // 00000000E45C: 0B151513
	v_mul_f32_e32 v139, v19, v139                              // 00000000E460: 0B171713
	v_mul_f32_e32 v140, v19, v140                              // 00000000E464: 0B191913
	v_mul_f32_e32 v141, v19, v141                              // 00000000E468: 0B1B1B13
	v_mul_f32_e32 v142, v19, v142                              // 00000000E46C: 0B1D1D13
	v_mul_f32_e32 v143, v19, v143                              // 00000000E470: 0B1F1F13
	v_mul_f32_dpp v128, v248, v128 quad_perm:[0,0,0,0] row_mask:0xf bank_mask:0xf// 00000000E474: 0B0100FA FF0000F8
	v_mul_f32_dpp v129, v248, v129 quad_perm:[1,1,1,1] row_mask:0xf bank_mask:0xf// 00000000E47C: 0B0302FA FF0055F8
	v_mul_f32_dpp v130, v248, v130 quad_perm:[2,2,2,2] row_mask:0xf bank_mask:0xf// 00000000E484: 0B0504FA FF00AAF8
	v_mul_f32_dpp v131, v248, v131 quad_perm:[3,3,3,3] row_mask:0xf bank_mask:0xf// 00000000E48C: 0B0706FA FF00FFF8
	v_mul_f32_dpp v132, v249, v132 quad_perm:[0,0,0,0] row_mask:0xf bank_mask:0xf// 00000000E494: 0B0908FA FF0000F9
	v_mul_f32_dpp v133, v249, v133 quad_perm:[1,1,1,1] row_mask:0xf bank_mask:0xf// 00000000E49C: 0B0B0AFA FF0055F9
	v_mul_f32_dpp v134, v249, v134 quad_perm:[2,2,2,2] row_mask:0xf bank_mask:0xf// 00000000E4A4: 0B0D0CFA FF00AAF9
	v_mul_f32_dpp v135, v249, v135 quad_perm:[3,3,3,3] row_mask:0xf bank_mask:0xf// 00000000E4AC: 0B0F0EFA FF00FFF9
	v_mul_f32_dpp v136, v250, v136 quad_perm:[0,0,0,0] row_mask:0xf bank_mask:0xf// 00000000E4B4: 0B1110FA FF0000FA
	v_mul_f32_dpp v137, v250, v137 quad_perm:[1,1,1,1] row_mask:0xf bank_mask:0xf// 00000000E4BC: 0B1312FA FF0055FA
	v_mul_f32_dpp v138, v250, v138 quad_perm:[2,2,2,2] row_mask:0xf bank_mask:0xf// 00000000E4C4: 0B1514FA FF00AAFA
	v_mul_f32_dpp v139, v250, v139 quad_perm:[3,3,3,3] row_mask:0xf bank_mask:0xf// 00000000E4CC: 0B1716FA FF00FFFA
	v_mul_f32_dpp v140, v251, v140 quad_perm:[0,0,0,0] row_mask:0xf bank_mask:0xf// 00000000E4D4: 0B1918FA FF0000FB
	v_mul_f32_dpp v141, v251, v141 quad_perm:[1,1,1,1] row_mask:0xf bank_mask:0xf// 00000000E4DC: 0B1B1AFA FF0055FB
	v_mul_f32_dpp v142, v251, v142 quad_perm:[2,2,2,2] row_mask:0xf bank_mask:0xf// 00000000E4E4: 0B1D1CFA FF00AAFB
	v_mul_f32_dpp v143, v251, v143 quad_perm:[3,3,3,3] row_mask:0xf bank_mask:0xf// 00000000E4EC: 0B1F1EFA FF00FFFB
	s_cmp_le_i32 s90, s89                                      // 00000000E4F4: BF05595A
	s_cbranch_scc1 label_3130                                  // 00000000E4F8: BF850071
	v_mov_b32_e32 v66, 0xff800000                              // 00000000E4FC: 7E8402FF FF800000
	s_mov_b32 s60, s90                                         // 00000000E504: BEBC005A
	s_add_u32 s61, s89, 0xff                                   // 00000000E508: 803DFF59 000000FF
	v_mov_b32_e32 v64, s61                                     // 00000000E510: 7E80023D
	v_lshrrev_b32_e32 v240, 4, v0                              // 00000000E514: 21E00084
	v_mul_i32_i24_e32 v240, 4, v240                            // 00000000E518: 0DE1E084
	v_add_u32_e32 v240, s60, v240                              // 00000000E51C: 69E1E03C
	s_mov_b32 s61, 1                                           // 00000000E520: BEBD0081
	s_mul_i32 s60, 16, s7                                      // 00000000E524: 923C0790
	v_sub_u32_e64 v240, v240, s61                              // 00000000E528: D13500F0 00007BF0
	v_add_u32_e32 v240, s60, v240                              // 00000000E530: 69E1E03C
	v_add_u32_e32 v241, 1, v240                                // 00000000E534: 69E3E081
	v_add_u32_e32 v242, 2, v240                                // 00000000E538: 69E5E082
	v_add_u32_e32 v243, 3, v240                                // 00000000E53C: 69E7E083
	v_cmp_le_u32_e64 s[40:41], v240, v64                       // 00000000E540: D0CB0028 000281F0
	v_add_u32_e32 v240, 64, v240                               // 00000000E548: 69E1E0C0
	s_nop 0                                                    // 00000000E54C: BF800000
	v_cndmask_b32_e64 v128, v66, v128, s[40:41]                // 00000000E550: D1000080 00A30142
	v_cmp_le_u32_e64 s[40:41], v241, v64                       // 00000000E558: D0CB0028 000281F1
	v_add_u32_e32 v241, 64, v241                               // 00000000E560: 69E3E2C0
	s_nop 0                                                    // 00000000E564: BF800000
	v_cndmask_b32_e64 v129, v66, v129, s[40:41]                // 00000000E568: D1000081 00A30342
	v_cmp_le_u32_e64 s[40:41], v242, v64                       // 00000000E570: D0CB0028 000281F2
	v_add_u32_e32 v242, 64, v242                               // 00000000E578: 69E5E4C0
	s_nop 0                                                    // 00000000E57C: BF800000
	v_cndmask_b32_e64 v130, v66, v130, s[40:41]                // 00000000E580: D1000082 00A30542
	v_cmp_le_u32_e64 s[40:41], v243, v64                       // 00000000E588: D0CB0028 000281F3
	v_add_u32_e32 v243, 64, v243                               // 00000000E590: 69E7E6C0
	s_nop 0                                                    // 00000000E594: BF800000
	v_cndmask_b32_e64 v131, v66, v131, s[40:41]                // 00000000E598: D1000083 00A30742
	v_cmp_le_u32_e64 s[40:41], v240, v64                       // 00000000E5A0: D0CB0028 000281F0
	v_add_u32_e32 v240, 64, v240                               // 00000000E5A8: 69E1E0C0
	s_nop 0                                                    // 00000000E5AC: BF800000
	v_cndmask_b32_e64 v132, v66, v132, s[40:41]                // 00000000E5B0: D1000084 00A30942
	v_cmp_le_u32_e64 s[40:41], v241, v64                       // 00000000E5B8: D0CB0028 000281F1
	v_add_u32_e32 v241, 64, v241                               // 00000000E5C0: 69E3E2C0
	s_nop 0                                                    // 00000000E5C4: BF800000
	v_cndmask_b32_e64 v133, v66, v133, s[40:41]                // 00000000E5C8: D1000085 00A30B42
	v_cmp_le_u32_e64 s[40:41], v242, v64                       // 00000000E5D0: D0CB0028 000281F2
	v_add_u32_e32 v242, 64, v242                               // 00000000E5D8: 69E5E4C0
	s_nop 0                                                    // 00000000E5DC: BF800000
	v_cndmask_b32_e64 v134, v66, v134, s[40:41]                // 00000000E5E0: D1000086 00A30D42
	v_cmp_le_u32_e64 s[40:41], v243, v64                       // 00000000E5E8: D0CB0028 000281F3
	v_add_u32_e32 v243, 64, v243                               // 00000000E5F0: 69E7E6C0
	s_nop 0                                                    // 00000000E5F4: BF800000
	v_cndmask_b32_e64 v135, v66, v135, s[40:41]                // 00000000E5F8: D1000087 00A30F42
	v_cmp_le_u32_e64 s[40:41], v240, v64                       // 00000000E600: D0CB0028 000281F0
	v_add_u32_e32 v240, 64, v240                               // 00000000E608: 69E1E0C0
	s_nop 0                                                    // 00000000E60C: BF800000
	v_cndmask_b32_e64 v136, v66, v136, s[40:41]                // 00000000E610: D1000088 00A31142
	v_cmp_le_u32_e64 s[40:41], v241, v64                       // 00000000E618: D0CB0028 000281F1
	v_add_u32_e32 v241, 64, v241                               // 00000000E620: 69E3E2C0
	s_nop 0                                                    // 00000000E624: BF800000
	v_cndmask_b32_e64 v137, v66, v137, s[40:41]                // 00000000E628: D1000089 00A31342
	v_cmp_le_u32_e64 s[40:41], v242, v64                       // 00000000E630: D0CB0028 000281F2
	v_add_u32_e32 v242, 64, v242                               // 00000000E638: 69E5E4C0
	s_nop 0                                                    // 00000000E63C: BF800000
	v_cndmask_b32_e64 v138, v66, v138, s[40:41]                // 00000000E640: D100008A 00A31542
	v_cmp_le_u32_e64 s[40:41], v243, v64                       // 00000000E648: D0CB0028 000281F3
	v_add_u32_e32 v243, 64, v243                               // 00000000E650: 69E7E6C0
	s_nop 0                                                    // 00000000E654: BF800000
	v_cndmask_b32_e64 v139, v66, v139, s[40:41]                // 00000000E658: D100008B 00A31742
	v_cmp_le_u32_e64 s[40:41], v240, v64                       // 00000000E660: D0CB0028 000281F0
	v_add_u32_e32 v240, 64, v240                               // 00000000E668: 69E1E0C0
	s_nop 0                                                    // 00000000E66C: BF800000
	v_cndmask_b32_e64 v140, v66, v140, s[40:41]                // 00000000E670: D100008C 00A31942
	v_cmp_le_u32_e64 s[40:41], v241, v64                       // 00000000E678: D0CB0028 000281F1
	v_add_u32_e32 v241, 64, v241                               // 00000000E680: 69E3E2C0
	s_nop 0                                                    // 00000000E684: BF800000
	v_cndmask_b32_e64 v141, v66, v141, s[40:41]                // 00000000E688: D100008D 00A31B42
	v_cmp_le_u32_e64 s[40:41], v242, v64                       // 00000000E690: D0CB0028 000281F2
	v_add_u32_e32 v242, 64, v242                               // 00000000E698: 69E5E4C0
	s_nop 0                                                    // 00000000E69C: BF800000
	v_cndmask_b32_e64 v142, v66, v142, s[40:41]                // 00000000E6A0: D100008E 00A31D42
	v_cmp_le_u32_e64 s[40:41], v243, v64                       // 00000000E6A8: D0CB0028 000281F3
	v_add_u32_e32 v243, 64, v243                               // 00000000E6B0: 69E7E6C0
	s_nop 0                                                    // 00000000E6B4: BF800000
	v_cndmask_b32_e64 v143, v66, v143, s[40:41]                // 00000000E6B8: D100008F 00A31F42

000000000000e6c0 <label_3130>:
	s_add_u32 s90, s91, s90                                    // 00000000E6C0: 805A5A5B
	s_and_b32 s60, s72, 0xff                                   // 00000000E6C4: 863CFF48 000000FF
	v_mov_b32_e32 v65, s60                                     // 00000000E6CC: 7E82023C
	v_lshrrev_b32_e32 v240, 4, v0                              // 00000000E6D0: 21E00084
	v_mul_i32_i24_e32 v240, 4, v240                            // 00000000E6D4: 0DE1E084
	s_mul_i32 s60, s7, 16                                      // 00000000E6D8: 923C9007
	v_add_u32_e32 v240, s60, v240                              // 00000000E6DC: 69E1E03C
	v_add_u32_e32 v241, 1, v240                                // 00000000E6E0: 69E3E081
	v_add_u32_e32 v242, 2, v240                                // 00000000E6E4: 69E5E082
	v_add_u32_e32 v243, 3, v240                                // 00000000E6E8: 69E7E083
	v_mov_b32_e32 v64, 0xff800000                              // 00000000E6EC: 7E8002FF FF800000
	v_cmp_lt_u32_e64 s[40:41], v240, v65                       // 00000000E6F4: D0C90028 000283F0
	v_add_u32_e32 v240, 64, v240                               // 00000000E6FC: 69E1E0C0
	s_nop 0                                                    // 00000000E700: BF800000
	v_cndmask_b32_e64 v128, v64, v128, s[40:41]                // 00000000E704: D1000080 00A30140
	v_cmp_lt_u32_e64 s[40:41], v241, v65                       // 00000000E70C: D0C90028 000283F1
	v_add_u32_e32 v241, 64, v241                               // 00000000E714: 69E3E2C0
	s_nop 0                                                    // 00000000E718: BF800000
	v_cndmask_b32_e64 v129, v64, v129, s[40:41]                // 00000000E71C: D1000081 00A30340
	v_cmp_lt_u32_e64 s[40:41], v242, v65                       // 00000000E724: D0C90028 000283F2
	v_add_u32_e32 v242, 64, v242                               // 00000000E72C: 69E5E4C0
	s_nop 0                                                    // 00000000E730: BF800000
	v_cndmask_b32_e64 v130, v64, v130, s[40:41]                // 00000000E734: D1000082 00A30540
	v_cmp_lt_u32_e64 s[40:41], v243, v65                       // 00000000E73C: D0C90028 000283F3
	v_add_u32_e32 v243, 64, v243                               // 00000000E744: 69E7E6C0
	s_nop 0                                                    // 00000000E748: BF800000
	v_cndmask_b32_e64 v131, v64, v131, s[40:41]                // 00000000E74C: D1000083 00A30740
	v_cmp_lt_u32_e64 s[40:41], v240, v65                       // 00000000E754: D0C90028 000283F0
	v_add_u32_e32 v240, 64, v240                               // 00000000E75C: 69E1E0C0
	s_nop 0                                                    // 00000000E760: BF800000
	v_cndmask_b32_e64 v132, v64, v132, s[40:41]                // 00000000E764: D1000084 00A30940
	v_cmp_lt_u32_e64 s[40:41], v241, v65                       // 00000000E76C: D0C90028 000283F1
	v_add_u32_e32 v241, 64, v241                               // 00000000E774: 69E3E2C0
	s_nop 0                                                    // 00000000E778: BF800000
	v_cndmask_b32_e64 v133, v64, v133, s[40:41]                // 00000000E77C: D1000085 00A30B40
	v_cmp_lt_u32_e64 s[40:41], v242, v65                       // 00000000E784: D0C90028 000283F2
	v_add_u32_e32 v242, 64, v242                               // 00000000E78C: 69E5E4C0
	s_nop 0                                                    // 00000000E790: BF800000
	v_cndmask_b32_e64 v134, v64, v134, s[40:41]                // 00000000E794: D1000086 00A30D40
	v_cmp_lt_u32_e64 s[40:41], v243, v65                       // 00000000E79C: D0C90028 000283F3
	v_add_u32_e32 v243, 64, v243                               // 00000000E7A4: 69E7E6C0
	s_nop 0                                                    // 00000000E7A8: BF800000
	v_cndmask_b32_e64 v135, v64, v135, s[40:41]                // 00000000E7AC: D1000087 00A30F40
	v_cmp_lt_u32_e64 s[40:41], v240, v65                       // 00000000E7B4: D0C90028 000283F0
	v_add_u32_e32 v240, 64, v240                               // 00000000E7BC: 69E1E0C0
	s_nop 0                                                    // 00000000E7C0: BF800000
	v_cndmask_b32_e64 v136, v64, v136, s[40:41]                // 00000000E7C4: D1000088 00A31140
	v_cmp_lt_u32_e64 s[40:41], v241, v65                       // 00000000E7CC: D0C90028 000283F1
	v_add_u32_e32 v241, 64, v241                               // 00000000E7D4: 69E3E2C0
	s_nop 0                                                    // 00000000E7D8: BF800000
	v_cndmask_b32_e64 v137, v64, v137, s[40:41]                // 00000000E7DC: D1000089 00A31340
	v_cmp_lt_u32_e64 s[40:41], v242, v65                       // 00000000E7E4: D0C90028 000283F2
	v_add_u32_e32 v242, 64, v242                               // 00000000E7EC: 69E5E4C0
	s_nop 0                                                    // 00000000E7F0: BF800000
	v_cndmask_b32_e64 v138, v64, v138, s[40:41]                // 00000000E7F4: D100008A 00A31540
	v_cmp_lt_u32_e64 s[40:41], v243, v65                       // 00000000E7FC: D0C90028 000283F3
	v_add_u32_e32 v243, 64, v243                               // 00000000E804: 69E7E6C0
	s_nop 0                                                    // 00000000E808: BF800000
	v_cndmask_b32_e64 v139, v64, v139, s[40:41]                // 00000000E80C: D100008B 00A31740
	v_cmp_lt_u32_e64 s[40:41], v240, v65                       // 00000000E814: D0C90028 000283F0
	v_add_u32_e32 v240, 64, v240                               // 00000000E81C: 69E1E0C0
	s_nop 0                                                    // 00000000E820: BF800000
	v_cndmask_b32_e64 v140, v64, v140, s[40:41]                // 00000000E824: D100008C 00A31940
	v_cmp_lt_u32_e64 s[40:41], v241, v65                       // 00000000E82C: D0C90028 000283F1
	v_add_u32_e32 v241, 64, v241                               // 00000000E834: 69E3E2C0
	s_nop 0                                                    // 00000000E838: BF800000
	v_cndmask_b32_e64 v141, v64, v141, s[40:41]                // 00000000E83C: D100008D 00A31B40
	v_cmp_lt_u32_e64 s[40:41], v242, v65                       // 00000000E844: D0C90028 000283F2
	v_add_u32_e32 v242, 64, v242                               // 00000000E84C: 69E5E4C0
	s_nop 0                                                    // 00000000E850: BF800000
	v_cndmask_b32_e64 v142, v64, v142, s[40:41]                // 00000000E854: D100008E 00A31D40
	v_cmp_lt_u32_e64 s[40:41], v243, v65                       // 00000000E85C: D0C90028 000283F3
	v_add_u32_e32 v243, 64, v243                               // 00000000E864: 69E7E6C0
	s_nop 0                                                    // 00000000E868: BF800000
	v_cndmask_b32_e64 v143, v64, v143, s[40:41]                // 00000000E86C: D100008F 00A31F40
	v_mov_b32_e32 v48, v128                                    // 00000000E874: 7E600380
	v_max3_f32 v48, v128, v129, v48                            // 00000000E878: D1D30030 04C30380
	v_max3_f32 v48, v130, v131, v48                            // 00000000E880: D1D30030 04C30782
	v_max3_f32 v48, v132, v133, v48                            // 00000000E888: D1D30030 04C30B84
	v_max3_f32 v48, v134, v135, v48                            // 00000000E890: D1D30030 04C30F86
	v_max3_f32 v48, v136, v137, v48                            // 00000000E898: D1D30030 04C31388
	v_max3_f32 v48, v138, v139, v48                            // 00000000E8A0: D1D30030 04C3178A
	v_max3_f32 v48, v140, v141, v48                            // 00000000E8A8: D1D30030 04C31B8C
	v_max3_f32 v48, v142, v143, v48                            // 00000000E8B0: D1D30030 04C31F8E
	ds_write_b32 v8, v48 offset:16896                          // 00000000E8B8: D81A4200 00003008
	v_mul_f32_e32 v216, v50, v216                              // 00000000E8C0: 0BB1B132
	v_mul_f32_e32 v217, v50, v217                              // 00000000E8C4: 0BB3B332
	v_mul_f32_e32 v218, v50, v218                              // 00000000E8C8: 0BB5B532
	v_mul_f32_e32 v219, v50, v219                              // 00000000E8CC: 0BB7B732
	v_mul_f32_e32 v220, v50, v220                              // 00000000E8D0: 0BB9B932
	v_mul_f32_e32 v221, v50, v221                              // 00000000E8D4: 0BBBBB32
	v_mul_f32_e32 v222, v50, v222                              // 00000000E8D8: 0BBDBD32
	v_mul_f32_e32 v223, v50, v223                              // 00000000E8DC: 0BBFBF32
	s_waitcnt lgkmcnt(0)                                       // 00000000E8E0: BF8CC07F
	s_barrier                                                  // 00000000E8E4: BF8A0000
	ds_read_b32 v64, v7 offset:16896                           // 00000000E8E8: D86C4200 40000007
	ds_read_b32 v65, v7 offset:16960                           // 00000000E8F0: D86C4240 41000007
	ds_read_b32 v66, v7 offset:17024                           // 00000000E8F8: D86C4280 42000007
	ds_read_b32 v67, v7 offset:17088                           // 00000000E900: D86C42C0 43000007
	ds_read_b32 v68, v7 offset:17152                           // 00000000E908: D86C4300 44000007
	ds_read_b32 v69, v7 offset:17216                           // 00000000E910: D86C4340 45000007
	ds_read_b32 v70, v7 offset:17280                           // 00000000E918: D86C4380 46000007
	ds_read_b32 v71, v7 offset:17344                           // 00000000E920: D86C43C0 47000007
	ds_read_b32 v72, v7 offset:17408                           // 00000000E928: D86C4400 48000007
	ds_read_b32 v73, v7 offset:17472                           // 00000000E930: D86C4440 49000007
	ds_read_b32 v74, v7 offset:17536                           // 00000000E938: D86C4480 4A000007
	ds_read_b32 v75, v7 offset:17600                           // 00000000E940: D86C44C0 4B000007
	ds_read_b32 v76, v7 offset:17664                           // 00000000E948: D86C4500 4C000007
	ds_read_b32 v77, v7 offset:17728                           // 00000000E950: D86C4540 4D000007
	ds_read_b32 v78, v7 offset:17792                           // 00000000E958: D86C4580 4E000007
	ds_read_b32 v79, v7 offset:17856                           // 00000000E960: D86C45C0 4F000007
	v_cvt_f32_i32_e32 v184, v184                               // 00000000E968: 7F700BB8
	v_cvt_f32_i32_e32 v185, v185                               // 00000000E96C: 7F720BB9
	v_cvt_f32_i32_e32 v186, v186                               // 00000000E970: 7F740BBA
	v_cvt_f32_i32_e32 v187, v187                               // 00000000E974: 7F760BBB
	v_cvt_f32_i32_e32 v188, v188                               // 00000000E978: 7F780BBC
	v_cvt_f32_i32_e32 v189, v189                               // 00000000E97C: 7F7A0BBD
	v_cvt_f32_i32_e32 v190, v190                               // 00000000E980: 7F7C0BBE
	v_cvt_f32_i32_e32 v191, v191                               // 00000000E984: 7F7E0BBF
	v_mul_f32_e32 v184, v45, v184                              // 00000000E988: 0B71712D
	v_mul_f32_e32 v185, v45, v185                              // 00000000E98C: 0B73732D
	v_mul_f32_e32 v186, v45, v186                              // 00000000E990: 0B75752D
	v_mul_f32_e32 v187, v45, v187                              // 00000000E994: 0B77772D
	v_mul_f32_e32 v188, v45, v188                              // 00000000E998: 0B79792D
	v_mul_f32_e32 v189, v45, v189                              // 00000000E99C: 0B7B7B2D
	v_mul_f32_e32 v190, v45, v190                              // 00000000E9A0: 0B7D7D2D
	v_mul_f32_e32 v191, v45, v191                              // 00000000E9A4: 0B7F7F2D
	s_waitcnt lgkmcnt(0)                                       // 00000000E9A8: BF8CC07F
	v_max3_f32 v48, v64, v65, v48                              // 00000000E9AC: D1D30030 04C28340
	v_max3_f32 v48, v66, v67, v48                              // 00000000E9B4: D1D30030 04C28742
	v_max3_f32 v48, v68, v69, v48                              // 00000000E9BC: D1D30030 04C28B44
	v_max3_f32 v48, v70, v71, v48                              // 00000000E9C4: D1D30030 04C28F46
	v_max3_f32 v48, v72, v73, v48                              // 00000000E9CC: D1D30030 04C29348
	v_max3_f32 v48, v74, v75, v48                              // 00000000E9D4: D1D30030 04C2974A
	v_max3_f32 v48, v76, v77, v48                              // 00000000E9DC: D1D30030 04C29B4C
	v_max3_f32 v48, v78, v79, v48                              // 00000000E9E4: D1D30030 04C29F4E
	v_mov_b32_e32 v64, 0xff800000                              // 00000000E9EC: 7E8002FF FF800000
	v_cmp_eq_u32_e64 s[40:41], v64, v12                        // 00000000E9F4: D0CA0028 00021940
	s_nop 1                                                    // 00000000E9FC: BF800001
	v_max_f32_e32 v15, v48, v12                                // 00000000EA00: 161E1930
	v_mul_f32_e32 v53, s64, v15                                // 00000000EA04: 0A6A1E40
	v_fma_f32 v128, v128, s64, -v53                            // 00000000EA08: D1CB0080 84D48180
	v_fma_f32 v129, v129, s64, -v53                            // 00000000EA10: D1CB0081 84D48181
	v_fma_f32 v130, v130, s64, -v53                            // 00000000EA18: D1CB0082 84D48182
	v_fma_f32 v131, v131, s64, -v53                            // 00000000EA20: D1CB0083 84D48183
	v_fma_f32 v132, v132, s64, -v53                            // 00000000EA28: D1CB0084 84D48184
	v_fma_f32 v133, v133, s64, -v53                            // 00000000EA30: D1CB0085 84D48185
	v_fma_f32 v134, v134, s64, -v53                            // 00000000EA38: D1CB0086 84D48186
	v_fma_f32 v135, v135, s64, -v53                            // 00000000EA40: D1CB0087 84D48187
	v_fma_f32 v136, v136, s64, -v53                            // 00000000EA48: D1CB0088 84D48188
	v_fma_f32 v137, v137, s64, -v53                            // 00000000EA50: D1CB0089 84D48189
	v_fma_f32 v138, v138, s64, -v53                            // 00000000EA58: D1CB008A 84D4818A
	v_fma_f32 v139, v139, s64, -v53                            // 00000000EA60: D1CB008B 84D4818B
	v_fma_f32 v140, v140, s64, -v53                            // 00000000EA68: D1CB008C 84D4818C
	v_fma_f32 v141, v141, s64, -v53                            // 00000000EA70: D1CB008D 84D4818D
	v_fma_f32 v142, v142, s64, -v53                            // 00000000EA78: D1CB008E 84D4818E
	v_fma_f32 v143, v143, s64, -v53                            // 00000000EA80: D1CB008F 84D4818F
	v_exp_f32_e32 v128, v128                                   // 00000000EA88: 7F004180
	v_exp_f32_e32 v129, v129                                   // 00000000EA8C: 7F024181
	v_exp_f32_e32 v130, v130                                   // 00000000EA90: 7F044182
	v_exp_f32_e32 v131, v131                                   // 00000000EA94: 7F064183
	v_exp_f32_e32 v132, v132                                   // 00000000EA98: 7F084184
	v_exp_f32_e32 v133, v133                                   // 00000000EA9C: 7F0A4185
	v_exp_f32_e32 v134, v134                                   // 00000000EAA0: 7F0C4186
	v_exp_f32_e32 v135, v135                                   // 00000000EAA4: 7F0E4187
	v_exp_f32_e32 v136, v136                                   // 00000000EAA8: 7F104188
	v_exp_f32_e32 v137, v137                                   // 00000000EAAC: 7F124189
	v_exp_f32_e32 v138, v138                                   // 00000000EAB0: 7F14418A
	v_exp_f32_e32 v139, v139                                   // 00000000EAB4: 7F16418B
	v_exp_f32_e32 v140, v140                                   // 00000000EAB8: 7F18418C
	v_exp_f32_e32 v141, v141                                   // 00000000EABC: 7F1A418D
	v_exp_f32_e32 v142, v142                                   // 00000000EAC0: 7F1C418E
	v_exp_f32_e32 v143, v143                                   // 00000000EAC4: 7F1E418F
	v_mul_f32_dpp v240, v252, v128 quad_perm:[0,0,0,0] row_mask:0xf bank_mask:0xf// 00000000EAC8: 0BE100FA FF0000FC
	v_mul_f32_dpp v241, v252, v129 quad_perm:[1,1,1,1] row_mask:0xf bank_mask:0xf// 00000000EAD0: 0BE302FA FF0055FC
	v_mul_f32_dpp v242, v252, v130 quad_perm:[2,2,2,2] row_mask:0xf bank_mask:0xf// 00000000EAD8: 0BE504FA FF00AAFC
	v_mul_f32_dpp v243, v252, v131 quad_perm:[3,3,3,3] row_mask:0xf bank_mask:0xf// 00000000EAE0: 0BE706FA FF00FFFC
	v_mul_f32_dpp v244, v253, v132 quad_perm:[0,0,0,0] row_mask:0xf bank_mask:0xf// 00000000EAE8: 0BE908FA FF0000FD
	v_mul_f32_dpp v245, v253, v133 quad_perm:[1,1,1,1] row_mask:0xf bank_mask:0xf// 00000000EAF0: 0BEB0AFA FF0055FD
	v_mul_f32_dpp v246, v253, v134 quad_perm:[2,2,2,2] row_mask:0xf bank_mask:0xf// 00000000EAF8: 0BED0CFA FF00AAFD
	v_mul_f32_dpp v247, v253, v135 quad_perm:[3,3,3,3] row_mask:0xf bank_mask:0xf// 00000000EB00: 0BEF0EFA FF00FFFD
	v_mul_f32_dpp v248, v254, v136 quad_perm:[0,0,0,0] row_mask:0xf bank_mask:0xf// 00000000EB08: 0BF110FA FF0000FE
	v_mul_f32_dpp v249, v254, v137 quad_perm:[1,1,1,1] row_mask:0xf bank_mask:0xf// 00000000EB10: 0BF312FA FF0055FE
	v_mul_f32_dpp v250, v254, v138 quad_perm:[2,2,2,2] row_mask:0xf bank_mask:0xf// 00000000EB18: 0BF514FA FF00AAFE
	v_mul_f32_dpp v251, v254, v139 quad_perm:[3,3,3,3] row_mask:0xf bank_mask:0xf// 00000000EB20: 0BF716FA FF00FFFE
	v_mul_f32_dpp v252, v255, v140 quad_perm:[0,0,0,0] row_mask:0xf bank_mask:0xf// 00000000EB28: 0BF918FA FF0000FF
	v_mul_f32_dpp v253, v255, v141 quad_perm:[1,1,1,1] row_mask:0xf bank_mask:0xf// 00000000EB30: 0BFB1AFA FF0055FF
	v_mul_f32_dpp v254, v255, v142 quad_perm:[2,2,2,2] row_mask:0xf bank_mask:0xf// 00000000EB38: 0BFD1CFA FF00AAFF
	v_mul_f32_dpp v255, v255, v143 quad_perm:[3,3,3,3] row_mask:0xf bank_mask:0xf// 00000000EB40: 0BFF1EFA FF00FFFF
	v_mov_b32_e32 v48, 0x358637bd                              // 00000000EB48: 7E6002FF 358637BD
	v_max3_f32 v48, |v240|, |v241|, v48                        // 00000000EB50: D1D30330 04C3E3F0
	v_max3_f32 v48, |v242|, |v243|, v48                        // 00000000EB58: D1D30330 04C3E7F2
	v_max3_f32 v48, |v244|, |v245|, v48                        // 00000000EB60: D1D30330 04C3EBF4
	v_max3_f32 v48, |v246|, |v247|, v48                        // 00000000EB68: D1D30330 04C3EFF6
	v_max3_f32 v48, |v248|, |v249|, v48                        // 00000000EB70: D1D30330 04C3F3F8
	v_max3_f32 v48, |v250|, |v251|, v48                        // 00000000EB78: D1D30330 04C3F7FA
	v_max3_f32 v48, |v252|, |v253|, v48                        // 00000000EB80: D1D30330 04C3FBFC
	v_max3_f32 v48, |v254|, |v255|, v48                        // 00000000EB88: D1D30330 04C3FFFE
	ds_write_b32 v8, v48 offset:20992                          // 00000000EB90: D81A5200 00003008
	v_sub_f32_e32 v50, v12, v15                                // 00000000EB98: 04641F0C
	v_cndmask_b32_e64 v50, v50, 0, s[40:41]                    // 00000000EB9C: D1000032 00A10132
	v_mov_b32_e32 v12, v15                                     // 00000000EBA4: 7E18030F
	v_mul_f32_e32 v50, s64, v50                                // 00000000EBA8: 0A646440
	v_exp_f32_e32 v50, v50                                     // 00000000EBAC: 7E644132
	s_waitcnt lgkmcnt(0)                                       // 00000000EBB0: BF8CC07F
	s_barrier                                                  // 00000000EBB4: BF8A0000
	ds_read_b32 v64, v7 offset:20992                           // 00000000EBB8: D86C5200 40000007
	ds_read_b32 v65, v7 offset:21056                           // 00000000EBC0: D86C5240 41000007
	ds_read_b32 v66, v7 offset:21120                           // 00000000EBC8: D86C5280 42000007
	ds_read_b32 v67, v7 offset:21184                           // 00000000EBD0: D86C52C0 43000007
	ds_read_b32 v68, v7 offset:21248                           // 00000000EBD8: D86C5300 44000007
	ds_read_b32 v69, v7 offset:21312                           // 00000000EBE0: D86C5340 45000007
	ds_read_b32 v70, v7 offset:21376                           // 00000000EBE8: D86C5380 46000007
	ds_read_b32 v71, v7 offset:21440                           // 00000000EBF0: D86C53C0 47000007
	ds_read_b32 v72, v7 offset:21504                           // 00000000EBF8: D86C5400 48000007
	ds_read_b32 v73, v7 offset:21568                           // 00000000EC00: D86C5440 49000007
	ds_read_b32 v74, v7 offset:21632                           // 00000000EC08: D86C5480 4A000007
	ds_read_b32 v75, v7 offset:21696                           // 00000000EC10: D86C54C0 4B000007
	ds_read_b32 v76, v7 offset:21760                           // 00000000EC18: D86C5500 4C000007
	ds_read_b32 v77, v7 offset:21824                           // 00000000EC20: D86C5540 4D000007
	ds_read_b32 v78, v7 offset:21888                           // 00000000EC28: D86C5580 4E000007
	ds_read_b32 v79, v7 offset:21952                           // 00000000EC30: D86C55C0 4F000007
	v_mul_f32_e32 v39, v50, v39                                // 00000000EC38: 0A4E4F32
	v_mov_b32_e32 v15, v128                                    // 00000000EC3C: 7E1E0380
	v_add_f32_e32 v15, v129, v15                               // 00000000EC40: 021E1F81
	v_add_f32_e32 v15, v130, v15                               // 00000000EC44: 021E1F82
	v_add_f32_e32 v15, v131, v15                               // 00000000EC48: 021E1F83
	v_add_f32_e32 v15, v132, v15                               // 00000000EC4C: 021E1F84
	v_add_f32_e32 v15, v133, v15                               // 00000000EC50: 021E1F85
	v_add_f32_e32 v15, v134, v15                               // 00000000EC54: 021E1F86
	v_add_f32_e32 v15, v135, v15                               // 00000000EC58: 021E1F87
	v_add_f32_e32 v15, v136, v15                               // 00000000EC5C: 021E1F88
	v_add_f32_e32 v15, v137, v15                               // 00000000EC60: 021E1F89
	v_add_f32_e32 v15, v138, v15                               // 00000000EC64: 021E1F8A
	v_add_f32_e32 v15, v139, v15                               // 00000000EC68: 021E1F8B
	v_add_f32_e32 v15, v140, v15                               // 00000000EC6C: 021E1F8C
	v_add_f32_e32 v15, v141, v15                               // 00000000EC70: 021E1F8D
	v_add_f32_e32 v15, v142, v15                               // 00000000EC74: 021E1F8E
	v_add_f32_e32 v15, v143, v15                               // 00000000EC78: 021E1F8F
	v_add_f32_e32 v39, v15, v39                                // 00000000EC7C: 024E4F0F
	s_waitcnt lgkmcnt(0)                                       // 00000000EC80: BF8CC07F
	v_max3_f32 v48, |v64|, |v65|, v48                          // 00000000EC84: D1D30330 04C28340
	v_max3_f32 v48, |v66|, |v67|, v48                          // 00000000EC8C: D1D30330 04C28742
	v_max3_f32 v48, |v68|, |v69|, v48                          // 00000000EC94: D1D30330 04C28B44
	v_max3_f32 v48, |v70|, |v71|, v48                          // 00000000EC9C: D1D30330 04C28F46
	v_max3_f32 v48, |v72|, |v73|, v48                          // 00000000ECA4: D1D30330 04C29348
	v_max3_f32 v48, |v74|, |v75|, v48                          // 00000000ECAC: D1D30330 04C2974A
	v_max3_f32 v48, |v76|, |v77|, v48                          // 00000000ECB4: D1D30330 04C29B4C
	v_max3_f32 v48, |v78|, |v79|, v48                          // 00000000ECBC: D1D30330 04C29F4E
	s_nop 2                                                    // 00000000ECC4: BF800002
	v_rcp_f32_e32 v48, v48                                     // 00000000ECC8: 7E604530
	s_nop 1                                                    // 00000000ECCC: BF800001
	v_mul_f32_e32 v48, 0x42fe0000, v48                         // 00000000ECD0: 0A6060FF 42FE0000
	v_mul_f32_e32 v128, v48, v240                              // 00000000ECD8: 0B01E130
	v_mul_f32_e32 v129, v48, v241                              // 00000000ECDC: 0B03E330
	v_mul_f32_e32 v130, v48, v242                              // 00000000ECE0: 0B05E530
	v_mul_f32_e32 v131, v48, v243                              // 00000000ECE4: 0B07E730
	v_mul_f32_e32 v132, v48, v244                              // 00000000ECE8: 0B09E930
	v_mul_f32_e32 v133, v48, v245                              // 00000000ECEC: 0B0BEB30
	v_mul_f32_e32 v134, v48, v246                              // 00000000ECF0: 0B0DED30
	v_mul_f32_e32 v135, v48, v247                              // 00000000ECF4: 0B0FEF30
	v_mul_f32_e32 v136, v48, v248                              // 00000000ECF8: 0B11F130
	v_mul_f32_e32 v137, v48, v249                              // 00000000ECFC: 0B13F330
	v_mul_f32_e32 v138, v48, v250                              // 00000000ED00: 0B15F530
	v_mul_f32_e32 v139, v48, v251                              // 00000000ED04: 0B17F730
	v_mul_f32_e32 v140, v48, v252                              // 00000000ED08: 0B19F930
	v_mul_f32_e32 v141, v48, v253                              // 00000000ED0C: 0B1BFB30
	v_mul_f32_e32 v142, v48, v254                              // 00000000ED10: 0B1DFD30
	v_mul_f32_e32 v143, v48, v255                              // 00000000ED14: 0B1FFF30
	v_cvt_i32_f32_e32 v128, v128                               // 00000000ED18: 7F001180
	v_cvt_i32_f32_e32 v129, v129                               // 00000000ED1C: 7F021181
	v_cvt_i32_f32_e32 v130, v130                               // 00000000ED20: 7F041182
	v_cvt_i32_f32_e32 v131, v131                               // 00000000ED24: 7F061183
	v_cvt_i32_f32_e32 v132, v132                               // 00000000ED28: 7F081184
	v_cvt_i32_f32_e32 v133, v133                               // 00000000ED2C: 7F0A1185
	v_cvt_i32_f32_e32 v134, v134                               // 00000000ED30: 7F0C1186
	v_cvt_i32_f32_e32 v135, v135                               // 00000000ED34: 7F0E1187
	v_cvt_i32_f32_e32 v136, v136                               // 00000000ED38: 7F101188
	v_cvt_i32_f32_e32 v137, v137                               // 00000000ED3C: 7F121189
	v_cvt_i32_f32_e32 v138, v138                               // 00000000ED40: 7F14118A
	v_cvt_i32_f32_e32 v139, v139                               // 00000000ED44: 7F16118B
	v_cvt_i32_f32_e32 v140, v140                               // 00000000ED48: 7F18118C
	v_cvt_i32_f32_e32 v141, v141                               // 00000000ED4C: 7F1A118D
	v_cvt_i32_f32_e32 v142, v142                               // 00000000ED50: 7F1C118E
	v_cvt_i32_f32_e32 v143, v143                               // 00000000ED54: 7F1E118F
	v_perm_b32 v128, v129, v128, s53                           // 00000000ED58: D1ED0080 00D70181
	v_perm_b32 v128, v130, v128, s54                           // 00000000ED60: D1ED0080 00DB0182
	v_perm_b32 v128, v131, v128, s55                           // 00000000ED68: D1ED0080 00DF0183
	v_perm_b32 v129, v133, v132, s53                           // 00000000ED70: D1ED0081 00D70985
	v_perm_b32 v129, v134, v129, s54                           // 00000000ED78: D1ED0081 00DB0386
	v_perm_b32 v129, v135, v129, s55                           // 00000000ED80: D1ED0081 00DF0387
	v_perm_b32 v130, v137, v136, s53                           // 00000000ED88: D1ED0082 00D71189
	v_perm_b32 v130, v138, v130, s54                           // 00000000ED90: D1ED0082 00DB058A
	v_perm_b32 v130, v139, v130, s55                           // 00000000ED98: D1ED0082 00DF058B
	v_perm_b32 v131, v141, v140, s53                           // 00000000EDA0: D1ED0083 00D7198D
	v_perm_b32 v131, v142, v131, s54                           // 00000000EDA8: D1ED0083 00DB078E
	v_perm_b32 v131, v143, v131, s55                           // 00000000EDB0: D1ED0083 00DF078F
	ds_write_b32 v10, v128 offset:29184                        // 00000000EDB8: D81A7200 0000800A
	ds_write_b32 v10, v129 offset:30208                        // 00000000EDC0: D81A7600 0000810A
	ds_write_b32 v10, v130 offset:31232                        // 00000000EDC8: D81A7A00 0000820A
	ds_write_b32 v10, v131 offset:32256                        // 00000000EDD0: D81A7E00 0000830A
	v_add_f32_e32 v216, v216, v184                             // 00000000EDD8: 03B171D8
	v_add_f32_e32 v217, v217, v185                             // 00000000EDDC: 03B373D9
	v_add_f32_e32 v218, v218, v186                             // 00000000EDE0: 03B575DA
	v_add_f32_e32 v219, v219, v187                             // 00000000EDE4: 03B777DB
	v_add_f32_e32 v220, v220, v188                             // 00000000EDE8: 03B979DC
	v_add_f32_e32 v221, v221, v189                             // 00000000EDEC: 03BB7BDD
	v_add_f32_e32 v222, v222, v190                             // 00000000EDF0: 03BD7DDE
	v_add_f32_e32 v223, v223, v191                             // 00000000EDF4: 03BF7FDF
	v_rcp_f32_e32 v45, v48                                     // 00000000EDF8: 7E5A4530
	s_waitcnt lgkmcnt(0)                                       // 00000000EDFC: BF8CC07F
	s_barrier                                                  // 00000000EE00: BF8A0000
	ds_read_b64 v[128:129], v9 offset:29184                    // 00000000EE04: D8EC7200 80000009
	ds_read_b64 v[130:131], v9 offset:29312                    // 00000000EE0C: D8EC7280 82000009
	ds_read_b64 v[132:133], v9 offset:30208                    // 00000000EE14: D8EC7600 84000009
	ds_read_b64 v[134:135], v9 offset:30336                    // 00000000EE1C: D8EC7680 86000009
	ds_read_b64 v[136:137], v9 offset:31232                    // 00000000EE24: D8EC7A00 88000009
	ds_read_b64 v[138:139], v9 offset:31360                    // 00000000EE2C: D8EC7A80 8A000009
	ds_read_b64 v[140:141], v9 offset:32256                    // 00000000EE34: D8EC7E00 8C000009
	ds_read_b64 v[142:143], v9 offset:32384                    // 00000000EE3C: D8EC7E80 8E000009
	s_waitcnt vmcnt(0)                                         // 00000000EE44: BF8C0F70
	s_barrier                                                  // 00000000EE48: BF8A0000
	v_mfma_i32_16x16x32_i8 v[176:179], a[64:65], v[112:113], 0 // 00000000EE4C: D3D700B0 0A02E140
	v_mfma_i32_16x16x32_i8 v[176:179], a[66:67], v[114:115], v[176:179]// 00000000EE54: D3D700B0 0EC2E542
	v_mfma_i32_16x16x32_i8 v[176:179], a[68:69], v[116:117], v[176:179]// 00000000EE5C: D3D700B0 0EC2E944
	v_mfma_i32_16x16x32_i8 v[176:179], a[70:71], v[118:119], v[176:179]// 00000000EE64: D3D700B0 0EC2ED46
	v_mfma_i32_16x16x32_i8 v[176:179], a[72:73], v[120:121], v[176:179]// 00000000EE6C: D3D700B0 0EC2F148
	v_mfma_i32_16x16x32_i8 v[176:179], a[74:75], v[122:123], v[176:179]// 00000000EE74: D3D700B0 0EC2F54A
	v_mfma_i32_16x16x32_i8 v[176:179], a[76:77], v[124:125], v[176:179]// 00000000EE7C: D3D700B0 0EC2F94C
	v_mfma_i32_16x16x32_i8 v[176:179], a[78:79], v[126:127], v[176:179]// 00000000EE84: D3D700B0 0EC2FD4E
	v_mfma_i32_16x16x32_i8 v[180:183], a[80:81], v[112:113], 0 // 00000000EE8C: D3D700B4 0A02E150
	v_mfma_i32_16x16x32_i8 v[180:183], a[82:83], v[114:115], v[180:183]// 00000000EE94: D3D700B4 0ED2E552
	v_mfma_i32_16x16x32_i8 v[180:183], a[84:85], v[116:117], v[180:183]// 00000000EE9C: D3D700B4 0ED2E954
	v_mfma_i32_16x16x32_i8 v[180:183], a[86:87], v[118:119], v[180:183]// 00000000EEA4: D3D700B4 0ED2ED56
	v_mfma_i32_16x16x32_i8 v[180:183], a[88:89], v[120:121], v[180:183]// 00000000EEAC: D3D700B4 0ED2F158
	v_mfma_i32_16x16x32_i8 v[180:183], a[90:91], v[122:123], v[180:183]// 00000000EEB4: D3D700B4 0ED2F55A
	v_mfma_i32_16x16x32_i8 v[180:183], a[92:93], v[124:125], v[180:183]// 00000000EEBC: D3D700B4 0ED2F95C
	v_mfma_i32_16x16x32_i8 v[180:183], a[94:95], v[126:127], v[180:183]// 00000000EEC4: D3D700B4 0ED2FD5E
	v_mfma_i32_16x16x32_i8 v[184:187], a[64:65], v[128:129], 0 // 00000000EECC: D3D700B8 0A030140
	v_mfma_i32_16x16x32_i8 v[184:187], a[66:67], v[130:131], v[184:187]// 00000000EED4: D3D700B8 0EE30542
	v_mfma_i32_16x16x32_i8 v[184:187], a[68:69], v[132:133], v[184:187]// 00000000EEDC: D3D700B8 0EE30944
	v_mfma_i32_16x16x32_i8 v[184:187], a[70:71], v[134:135], v[184:187]// 00000000EEE4: D3D700B8 0EE30D46
	v_mfma_i32_16x16x32_i8 v[184:187], a[72:73], v[136:137], v[184:187]// 00000000EEEC: D3D700B8 0EE31148
	v_mfma_i32_16x16x32_i8 v[184:187], a[74:75], v[138:139], v[184:187]// 00000000EEF4: D3D700B8 0EE3154A
	v_mfma_i32_16x16x32_i8 v[184:187], a[76:77], v[140:141], v[184:187]// 00000000EEFC: D3D700B8 0EE3194C
	v_mfma_i32_16x16x32_i8 v[184:187], a[78:79], v[142:143], v[184:187]// 00000000EF04: D3D700B8 0EE31D4E
	v_mfma_i32_16x16x32_i8 v[188:191], a[80:81], v[128:129], 0 // 00000000EF0C: D3D700BC 0A030150
	v_mfma_i32_16x16x32_i8 v[188:191], a[82:83], v[130:131], v[188:191]// 00000000EF14: D3D700BC 0EF30552
	v_mfma_i32_16x16x32_i8 v[188:191], a[84:85], v[132:133], v[188:191]// 00000000EF1C: D3D700BC 0EF30954
	v_mfma_i32_16x16x32_i8 v[188:191], a[86:87], v[134:135], v[188:191]// 00000000EF24: D3D700BC 0EF30D56
	v_mfma_i32_16x16x32_i8 v[188:191], a[88:89], v[136:137], v[188:191]// 00000000EF2C: D3D700BC 0EF31158
	v_mfma_i32_16x16x32_i8 v[188:191], a[90:91], v[138:139], v[188:191]// 00000000EF34: D3D700BC 0EF3155A
	v_mfma_i32_16x16x32_i8 v[188:191], a[92:93], v[140:141], v[188:191]// 00000000EF3C: D3D700BC 0EF3195C
	v_mfma_i32_16x16x32_i8 v[188:191], a[94:95], v[142:143], v[188:191]// 00000000EF44: D3D700BC 0EF31D5E
	s_nop 4                                                    // 00000000EF4C: BF800004
	s_branch label_3976                                        // 00000000EF50: BF820621

000000000000ef54 <label_3355>:
	s_waitcnt vmcnt(8) lgkmcnt(0)                              // 00000000EF54: BF8C0078
	s_barrier                                                  // 00000000EF58: BF8A0000
	v_mfma_i32_16x16x32_i8 v[112:115], a[32:33], v[80:81], 0   // 00000000EF5C: D3D70070 0A02A120
	v_mfma_i32_16x16x32_i8 v[112:115], a[34:35], v[82:83], v[112:115]// 00000000EF64: D3D70070 0DC2A522
	v_mfma_i32_16x16x32_i8 v[112:115], a[36:37], v[84:85], v[112:115]// 00000000EF6C: D3D70070 0DC2A924
	v_mfma_i32_16x16x32_i8 v[112:115], a[38:39], v[86:87], v[112:115]// 00000000EF74: D3D70070 0DC2AD26
	v_mfma_i32_16x16x32_i8 v[116:119], a[40:41], v[80:81], 0   // 00000000EF7C: D3D70074 0A02A128
	v_mfma_i32_16x16x32_i8 v[116:119], a[42:43], v[82:83], v[116:119]// 00000000EF84: D3D70074 0DD2A52A
	v_mfma_i32_16x16x32_i8 v[116:119], a[44:45], v[84:85], v[116:119]// 00000000EF8C: D3D70074 0DD2A92C
	v_mfma_i32_16x16x32_i8 v[116:119], a[46:47], v[86:87], v[116:119]// 00000000EF94: D3D70074 0DD2AD2E
	v_mfma_i32_16x16x32_i8 v[120:123], a[48:49], v[80:81], 0   // 00000000EF9C: D3D70078 0A02A130
	v_mfma_i32_16x16x32_i8 v[120:123], a[50:51], v[82:83], v[120:123]// 00000000EFA4: D3D70078 0DE2A532
	v_mfma_i32_16x16x32_i8 v[120:123], a[52:53], v[84:85], v[120:123]// 00000000EFAC: D3D70078 0DE2A934
	v_mfma_i32_16x16x32_i8 v[120:123], a[54:55], v[86:87], v[120:123]// 00000000EFB4: D3D70078 0DE2AD36
	v_mfma_i32_16x16x32_i8 v[124:127], a[56:57], v[80:81], 0   // 00000000EFBC: D3D7007C 0A02A138
	v_mfma_i32_16x16x32_i8 v[124:127], a[58:59], v[82:83], v[124:127]// 00000000EFC4: D3D7007C 0DF2A53A
	v_mfma_i32_16x16x32_i8 v[124:127], a[60:61], v[84:85], v[124:127]// 00000000EFCC: D3D7007C 0DF2A93C
	v_mfma_i32_16x16x32_i8 v[124:127], a[62:63], v[86:87], v[124:127]// 00000000EFD4: D3D7007C 0DF2AD3E
	v_mfma_i32_16x16x32_i8 v[128:131], a[32:33], v[88:89], 0   // 00000000EFDC: D3D70080 0A02B120
	v_mfma_i32_16x16x32_i8 v[128:131], a[34:35], v[90:91], v[128:131]// 00000000EFE4: D3D70080 0E02B522
	v_mfma_i32_16x16x32_i8 v[128:131], a[36:37], v[92:93], v[128:131]// 00000000EFEC: D3D70080 0E02B924
	v_mfma_i32_16x16x32_i8 v[128:131], a[38:39], v[94:95], v[128:131]// 00000000EFF4: D3D70080 0E02BD26
	v_mfma_i32_16x16x32_i8 v[132:135], a[40:41], v[88:89], 0   // 00000000EFFC: D3D70084 0A02B128
	v_mfma_i32_16x16x32_i8 v[132:135], a[42:43], v[90:91], v[132:135]// 00000000F004: D3D70084 0E12B52A
	v_mfma_i32_16x16x32_i8 v[132:135], a[44:45], v[92:93], v[132:135]// 00000000F00C: D3D70084 0E12B92C
	v_mfma_i32_16x16x32_i8 v[132:135], a[46:47], v[94:95], v[132:135]// 00000000F014: D3D70084 0E12BD2E
	v_mfma_i32_16x16x32_i8 v[136:139], a[48:49], v[88:89], 0   // 00000000F01C: D3D70088 0A02B130
	v_mfma_i32_16x16x32_i8 v[136:139], a[50:51], v[90:91], v[136:139]// 00000000F024: D3D70088 0E22B532
	v_mfma_i32_16x16x32_i8 v[136:139], a[52:53], v[92:93], v[136:139]// 00000000F02C: D3D70088 0E22B934
	v_mfma_i32_16x16x32_i8 v[136:139], a[54:55], v[94:95], v[136:139]// 00000000F034: D3D70088 0E22BD36
	v_mfma_i32_16x16x32_i8 v[140:143], a[56:57], v[88:89], 0   // 00000000F03C: D3D7008C 0A02B138
	v_mfma_i32_16x16x32_i8 v[140:143], a[58:59], v[90:91], v[140:143]// 00000000F044: D3D7008C 0E32B53A
	v_mfma_i32_16x16x32_i8 v[140:143], a[60:61], v[92:93], v[140:143]// 00000000F04C: D3D7008C 0E32B93C
	v_mfma_i32_16x16x32_i8 v[140:143], a[62:63], v[94:95], v[140:143]// 00000000F054: D3D7008C 0E32BD3E
	v_mov_b32_dpp v64, v43 row_shr:4 row_mask:0xf bank_mask:0xf// 00000000F05C: 7E8002FA FF01142B
	v_mov_b32_dpp v65, v43 row_shl:4 row_mask:0xf bank_mask:0xf// 00000000F064: 7E8202FA FF01042B
	v_cndmask_b32_e64 v248, v43, v64, s[44:45]                 // 00000000F06C: D10000F8 00B2812B
	v_cndmask_b32_e64 v249, v65, v43, s[44:45]                 // 00000000F074: D10000F9 00B25741
	v_mov_b32_dpp v64, v248 row_shr:8 row_mask:0xf bank_mask:0xf// 00000000F07C: 7E8002FA FF0118F8
	v_mov_b32_dpp v65, v248 row_shl:8 row_mask:0xf bank_mask:0xf// 00000000F084: 7E8202FA FF0108F8
	v_mov_b32_dpp v66, v249 row_shr:8 row_mask:0xf bank_mask:0xf// 00000000F08C: 7E8402FA FF0118F9
	v_mov_b32_dpp v67, v249 row_shl:8 row_mask:0xf bank_mask:0xf// 00000000F094: 7E8602FA FF0108F9
	v_mov_b32_e32 v68, v248                                    // 00000000F09C: 7E8803F8
	v_mov_b32_e32 v69, v249                                    // 00000000F0A0: 7E8A03F9
	v_cndmask_b32_e64 v248, v68, v64, s[42:43]                 // 00000000F0A4: D10000F8 00AA8144
	v_cndmask_b32_e64 v250, v68, v65, s[78:79]                 // 00000000F0AC: D10000FA 013A8344
	v_cndmask_b32_e64 v249, v69, v66, s[42:43]                 // 00000000F0B4: D10000F9 00AA8545
	v_cndmask_b32_e64 v251, v69, v67, s[78:79]                 // 00000000F0BC: D10000FB 013A8745
	v_mov_b32_dpp v64, v58 row_shr:4 row_mask:0xf bank_mask:0xf// 00000000F0C4: 7E8002FA FF01143A
	v_mov_b32_dpp v65, v58 row_shl:4 row_mask:0xf bank_mask:0xf// 00000000F0CC: 7E8202FA FF01043A
	v_cndmask_b32_e64 v252, v58, v64, s[44:45]                 // 00000000F0D4: D10000FC 00B2813A
	v_cndmask_b32_e64 v253, v65, v58, s[44:45]                 // 00000000F0DC: D10000FD 00B27541
	v_mov_b32_dpp v64, v252 row_shr:8 row_mask:0xf bank_mask:0xf// 00000000F0E4: 7E8002FA FF0118FC
	v_mov_b32_dpp v65, v252 row_shl:8 row_mask:0xf bank_mask:0xf// 00000000F0EC: 7E8202FA FF0108FC
	v_mov_b32_dpp v66, v253 row_shr:8 row_mask:0xf bank_mask:0xf// 00000000F0F4: 7E8402FA FF0118FD
	v_mov_b32_dpp v67, v253 row_shl:8 row_mask:0xf bank_mask:0xf// 00000000F0FC: 7E8602FA FF0108FD
	v_mov_b32_e32 v68, v252                                    // 00000000F104: 7E8803FC
	v_mov_b32_e32 v69, v253                                    // 00000000F108: 7E8A03FD
	v_cndmask_b32_e64 v252, v68, v64, s[42:43]                 // 00000000F10C: D10000FC 00AA8144
	v_cndmask_b32_e64 v254, v68, v65, s[78:79]                 // 00000000F114: D10000FE 013A8344
	v_cndmask_b32_e64 v253, v69, v66, s[42:43]                 // 00000000F11C: D10000FD 00AA8545
	v_cndmask_b32_e64 v255, v69, v67, s[78:79]                 // 00000000F124: D10000FF 013A8745
	v_cvt_f32_i32_e32 v112, v112                               // 00000000F12C: 7EE00B70
	v_cvt_f32_i32_e32 v113, v113                               // 00000000F130: 7EE20B71
	v_cvt_f32_i32_e32 v114, v114                               // 00000000F134: 7EE40B72
	v_cvt_f32_i32_e32 v115, v115                               // 00000000F138: 7EE60B73
	v_cvt_f32_i32_e32 v116, v116                               // 00000000F13C: 7EE80B74
	v_cvt_f32_i32_e32 v117, v117                               // 00000000F140: 7EEA0B75
	v_cvt_f32_i32_e32 v118, v118                               // 00000000F144: 7EEC0B76
	v_cvt_f32_i32_e32 v119, v119                               // 00000000F148: 7EEE0B77
	v_cvt_f32_i32_e32 v120, v120                               // 00000000F14C: 7EF00B78
	v_cvt_f32_i32_e32 v121, v121                               // 00000000F150: 7EF20B79
	v_cvt_f32_i32_e32 v122, v122                               // 00000000F154: 7EF40B7A
	v_cvt_f32_i32_e32 v123, v123                               // 00000000F158: 7EF60B7B
	v_cvt_f32_i32_e32 v124, v124                               // 00000000F15C: 7EF80B7C
	v_cvt_f32_i32_e32 v125, v125                               // 00000000F160: 7EFA0B7D
	v_cvt_f32_i32_e32 v126, v126                               // 00000000F164: 7EFC0B7E
	v_cvt_f32_i32_e32 v127, v127                               // 00000000F168: 7EFE0B7F
	v_mul_f32_e32 v112, v18, v112                              // 00000000F16C: 0AE0E112
	v_mul_f32_e32 v113, v18, v113                              // 00000000F170: 0AE2E312
	v_mul_f32_e32 v114, v18, v114                              // 00000000F174: 0AE4E512
	v_mul_f32_e32 v115, v18, v115                              // 00000000F178: 0AE6E712
	v_mul_f32_e32 v116, v18, v116                              // 00000000F17C: 0AE8E912
	v_mul_f32_e32 v117, v18, v117                              // 00000000F180: 0AEAEB12
	v_mul_f32_e32 v118, v18, v118                              // 00000000F184: 0AECED12
	v_mul_f32_e32 v119, v18, v119                              // 00000000F188: 0AEEEF12
	v_mul_f32_e32 v120, v18, v120                              // 00000000F18C: 0AF0F112
	v_mul_f32_e32 v121, v18, v121                              // 00000000F190: 0AF2F312
	v_mul_f32_e32 v122, v18, v122                              // 00000000F194: 0AF4F512
	v_mul_f32_e32 v123, v18, v123                              // 00000000F198: 0AF6F712
	v_mul_f32_e32 v124, v18, v124                              // 00000000F19C: 0AF8F912
	v_mul_f32_e32 v125, v18, v125                              // 00000000F1A0: 0AFAFB12
	v_mul_f32_e32 v126, v18, v126                              // 00000000F1A4: 0AFCFD12
	v_mul_f32_e32 v127, v18, v127                              // 00000000F1A8: 0AFEFF12
	v_mul_f32_dpp v112, v248, v112 quad_perm:[0,0,0,0] row_mask:0xf bank_mask:0xf// 00000000F1AC: 0AE0E0FA FF0000F8
	v_mul_f32_dpp v113, v248, v113 quad_perm:[1,1,1,1] row_mask:0xf bank_mask:0xf// 00000000F1B4: 0AE2E2FA FF0055F8
	v_mul_f32_dpp v114, v248, v114 quad_perm:[2,2,2,2] row_mask:0xf bank_mask:0xf// 00000000F1BC: 0AE4E4FA FF00AAF8
	v_mul_f32_dpp v115, v248, v115 quad_perm:[3,3,3,3] row_mask:0xf bank_mask:0xf// 00000000F1C4: 0AE6E6FA FF00FFF8
	v_mul_f32_dpp v116, v249, v116 quad_perm:[0,0,0,0] row_mask:0xf bank_mask:0xf// 00000000F1CC: 0AE8E8FA FF0000F9
	v_mul_f32_dpp v117, v249, v117 quad_perm:[1,1,1,1] row_mask:0xf bank_mask:0xf// 00000000F1D4: 0AEAEAFA FF0055F9
	v_mul_f32_dpp v118, v249, v118 quad_perm:[2,2,2,2] row_mask:0xf bank_mask:0xf// 00000000F1DC: 0AECECFA FF00AAF9
	v_mul_f32_dpp v119, v249, v119 quad_perm:[3,3,3,3] row_mask:0xf bank_mask:0xf// 00000000F1E4: 0AEEEEFA FF00FFF9
	v_mul_f32_dpp v120, v250, v120 quad_perm:[0,0,0,0] row_mask:0xf bank_mask:0xf// 00000000F1EC: 0AF0F0FA FF0000FA
	v_mul_f32_dpp v121, v250, v121 quad_perm:[1,1,1,1] row_mask:0xf bank_mask:0xf// 00000000F1F4: 0AF2F2FA FF0055FA
	v_mul_f32_dpp v122, v250, v122 quad_perm:[2,2,2,2] row_mask:0xf bank_mask:0xf// 00000000F1FC: 0AF4F4FA FF00AAFA
	v_mul_f32_dpp v123, v250, v123 quad_perm:[3,3,3,3] row_mask:0xf bank_mask:0xf// 00000000F204: 0AF6F6FA FF00FFFA
	v_mul_f32_dpp v124, v251, v124 quad_perm:[0,0,0,0] row_mask:0xf bank_mask:0xf// 00000000F20C: 0AF8F8FA FF0000FB
	v_mul_f32_dpp v125, v251, v125 quad_perm:[1,1,1,1] row_mask:0xf bank_mask:0xf// 00000000F214: 0AFAFAFA FF0055FB
	v_mul_f32_dpp v126, v251, v126 quad_perm:[2,2,2,2] row_mask:0xf bank_mask:0xf// 00000000F21C: 0AFCFCFA FF00AAFB
	v_mul_f32_dpp v127, v251, v127 quad_perm:[3,3,3,3] row_mask:0xf bank_mask:0xf// 00000000F224: 0AFEFEFA FF00FFFB
	s_cmp_le_i32 s90, s89                                      // 00000000F22C: BF05595A
	s_cbranch_scc1 label_347E                                  // 00000000F230: BF850071
	v_mov_b32_e32 v66, 0xff800000                              // 00000000F234: 7E8402FF FF800000
	s_mov_b32 s60, s90                                         // 00000000F23C: BEBC005A
	s_add_u32 s61, s89, 0xff                                   // 00000000F240: 803DFF59 000000FF
	v_mov_b32_e32 v64, s61                                     // 00000000F248: 7E80023D
	v_lshrrev_b32_e32 v240, 4, v0                              // 00000000F24C: 21E00084
	v_mul_i32_i24_e32 v240, 4, v240                            // 00000000F250: 0DE1E084
	v_add_u32_e32 v240, s60, v240                              // 00000000F254: 69E1E03C
	s_mov_b32 s61, 0                                           // 00000000F258: BEBD0080
	s_mul_i32 s60, 16, s7                                      // 00000000F25C: 923C0790
	v_sub_u32_e64 v240, v240, s61                              // 00000000F260: D13500F0 00007BF0
	v_add_u32_e32 v240, s60, v240                              // 00000000F268: 69E1E03C
	v_add_u32_e32 v241, 1, v240                                // 00000000F26C: 69E3E081
	v_add_u32_e32 v242, 2, v240                                // 00000000F270: 69E5E082
	v_add_u32_e32 v243, 3, v240                                // 00000000F274: 69E7E083
	v_cmp_le_u32_e64 s[40:41], v240, v64                       // 00000000F278: D0CB0028 000281F0
	v_add_u32_e32 v240, 64, v240                               // 00000000F280: 69E1E0C0
	s_nop 0                                                    // 00000000F284: BF800000
	v_cndmask_b32_e64 v112, v66, v112, s[40:41]                // 00000000F288: D1000070 00A2E142
	v_cmp_le_u32_e64 s[40:41], v241, v64                       // 00000000F290: D0CB0028 000281F1
	v_add_u32_e32 v241, 64, v241                               // 00000000F298: 69E3E2C0
	s_nop 0                                                    // 00000000F29C: BF800000
	v_cndmask_b32_e64 v113, v66, v113, s[40:41]                // 00000000F2A0: D1000071 00A2E342
	v_cmp_le_u32_e64 s[40:41], v242, v64                       // 00000000F2A8: D0CB0028 000281F2
	v_add_u32_e32 v242, 64, v242                               // 00000000F2B0: 69E5E4C0
	s_nop 0                                                    // 00000000F2B4: BF800000
	v_cndmask_b32_e64 v114, v66, v114, s[40:41]                // 00000000F2B8: D1000072 00A2E542
	v_cmp_le_u32_e64 s[40:41], v243, v64                       // 00000000F2C0: D0CB0028 000281F3
	v_add_u32_e32 v243, 64, v243                               // 00000000F2C8: 69E7E6C0
	s_nop 0                                                    // 00000000F2CC: BF800000
	v_cndmask_b32_e64 v115, v66, v115, s[40:41]                // 00000000F2D0: D1000073 00A2E742
	v_cmp_le_u32_e64 s[40:41], v240, v64                       // 00000000F2D8: D0CB0028 000281F0
	v_add_u32_e32 v240, 64, v240                               // 00000000F2E0: 69E1E0C0
	s_nop 0                                                    // 00000000F2E4: BF800000
	v_cndmask_b32_e64 v116, v66, v116, s[40:41]                // 00000000F2E8: D1000074 00A2E942
	v_cmp_le_u32_e64 s[40:41], v241, v64                       // 00000000F2F0: D0CB0028 000281F1
	v_add_u32_e32 v241, 64, v241                               // 00000000F2F8: 69E3E2C0
	s_nop 0                                                    // 00000000F2FC: BF800000
	v_cndmask_b32_e64 v117, v66, v117, s[40:41]                // 00000000F300: D1000075 00A2EB42
	v_cmp_le_u32_e64 s[40:41], v242, v64                       // 00000000F308: D0CB0028 000281F2
	v_add_u32_e32 v242, 64, v242                               // 00000000F310: 69E5E4C0
	s_nop 0                                                    // 00000000F314: BF800000
	v_cndmask_b32_e64 v118, v66, v118, s[40:41]                // 00000000F318: D1000076 00A2ED42
	v_cmp_le_u32_e64 s[40:41], v243, v64                       // 00000000F320: D0CB0028 000281F3
	v_add_u32_e32 v243, 64, v243                               // 00000000F328: 69E7E6C0
	s_nop 0                                                    // 00000000F32C: BF800000
	v_cndmask_b32_e64 v119, v66, v119, s[40:41]                // 00000000F330: D1000077 00A2EF42
	v_cmp_le_u32_e64 s[40:41], v240, v64                       // 00000000F338: D0CB0028 000281F0
	v_add_u32_e32 v240, 64, v240                               // 00000000F340: 69E1E0C0
	s_nop 0                                                    // 00000000F344: BF800000
	v_cndmask_b32_e64 v120, v66, v120, s[40:41]                // 00000000F348: D1000078 00A2F142
	v_cmp_le_u32_e64 s[40:41], v241, v64                       // 00000000F350: D0CB0028 000281F1
	v_add_u32_e32 v241, 64, v241                               // 00000000F358: 69E3E2C0
	s_nop 0                                                    // 00000000F35C: BF800000
	v_cndmask_b32_e64 v121, v66, v121, s[40:41]                // 00000000F360: D1000079 00A2F342
	v_cmp_le_u32_e64 s[40:41], v242, v64                       // 00000000F368: D0CB0028 000281F2
	v_add_u32_e32 v242, 64, v242                               // 00000000F370: 69E5E4C0
	s_nop 0                                                    // 00000000F374: BF800000
	v_cndmask_b32_e64 v122, v66, v122, s[40:41]                // 00000000F378: D100007A 00A2F542
	v_cmp_le_u32_e64 s[40:41], v243, v64                       // 00000000F380: D0CB0028 000281F3
	v_add_u32_e32 v243, 64, v243                               // 00000000F388: 69E7E6C0
	s_nop 0                                                    // 00000000F38C: BF800000
	v_cndmask_b32_e64 v123, v66, v123, s[40:41]                // 00000000F390: D100007B 00A2F742
	v_cmp_le_u32_e64 s[40:41], v240, v64                       // 00000000F398: D0CB0028 000281F0
	v_add_u32_e32 v240, 64, v240                               // 00000000F3A0: 69E1E0C0
	s_nop 0                                                    // 00000000F3A4: BF800000
	v_cndmask_b32_e64 v124, v66, v124, s[40:41]                // 00000000F3A8: D100007C 00A2F942
	v_cmp_le_u32_e64 s[40:41], v241, v64                       // 00000000F3B0: D0CB0028 000281F1
	v_add_u32_e32 v241, 64, v241                               // 00000000F3B8: 69E3E2C0
	s_nop 0                                                    // 00000000F3BC: BF800000
	v_cndmask_b32_e64 v125, v66, v125, s[40:41]                // 00000000F3C0: D100007D 00A2FB42
	v_cmp_le_u32_e64 s[40:41], v242, v64                       // 00000000F3C8: D0CB0028 000281F2
	v_add_u32_e32 v242, 64, v242                               // 00000000F3D0: 69E5E4C0
	s_nop 0                                                    // 00000000F3D4: BF800000
	v_cndmask_b32_e64 v126, v66, v126, s[40:41]                // 00000000F3D8: D100007E 00A2FD42
	v_cmp_le_u32_e64 s[40:41], v243, v64                       // 00000000F3E0: D0CB0028 000281F3
	v_add_u32_e32 v243, 64, v243                               // 00000000F3E8: 69E7E6C0
	s_nop 0                                                    // 00000000F3EC: BF800000
	v_cndmask_b32_e64 v127, v66, v127, s[40:41]                // 00000000F3F0: D100007F 00A2FF42

000000000000f3f8 <label_347E>:
	s_and_b32 s60, s72, 0xff                                   // 00000000F3F8: 863CFF48 000000FF
	v_mov_b32_e32 v65, s60                                     // 00000000F400: 7E82023C
	v_lshrrev_b32_e32 v240, 4, v0                              // 00000000F404: 21E00084
	v_mul_i32_i24_e32 v240, 4, v240                            // 00000000F408: 0DE1E084
	s_mul_i32 s60, s7, 16                                      // 00000000F40C: 923C9007
	v_add_u32_e32 v240, s60, v240                              // 00000000F410: 69E1E03C
	v_add_u32_e32 v241, 1, v240                                // 00000000F414: 69E3E081
	v_add_u32_e32 v242, 2, v240                                // 00000000F418: 69E5E082
	v_add_u32_e32 v243, 3, v240                                // 00000000F41C: 69E7E083
	v_mov_b32_e32 v64, 0xff800000                              // 00000000F420: 7E8002FF FF800000
	v_cmp_lt_u32_e64 s[40:41], v240, v65                       // 00000000F428: D0C90028 000283F0
	v_add_u32_e32 v240, 64, v240                               // 00000000F430: 69E1E0C0
	s_nop 0                                                    // 00000000F434: BF800000
	v_cndmask_b32_e64 v112, v64, v112, s[40:41]                // 00000000F438: D1000070 00A2E140
	v_cmp_lt_u32_e64 s[40:41], v241, v65                       // 00000000F440: D0C90028 000283F1
	v_add_u32_e32 v241, 64, v241                               // 00000000F448: 69E3E2C0
	s_nop 0                                                    // 00000000F44C: BF800000
	v_cndmask_b32_e64 v113, v64, v113, s[40:41]                // 00000000F450: D1000071 00A2E340
	v_cmp_lt_u32_e64 s[40:41], v242, v65                       // 00000000F458: D0C90028 000283F2
	v_add_u32_e32 v242, 64, v242                               // 00000000F460: 69E5E4C0
	s_nop 0                                                    // 00000000F464: BF800000
	v_cndmask_b32_e64 v114, v64, v114, s[40:41]                // 00000000F468: D1000072 00A2E540
	v_cmp_lt_u32_e64 s[40:41], v243, v65                       // 00000000F470: D0C90028 000283F3
	v_add_u32_e32 v243, 64, v243                               // 00000000F478: 69E7E6C0
	s_nop 0                                                    // 00000000F47C: BF800000
	v_cndmask_b32_e64 v115, v64, v115, s[40:41]                // 00000000F480: D1000073 00A2E740
	v_cmp_lt_u32_e64 s[40:41], v240, v65                       // 00000000F488: D0C90028 000283F0
	v_add_u32_e32 v240, 64, v240                               // 00000000F490: 69E1E0C0
	s_nop 0                                                    // 00000000F494: BF800000
	v_cndmask_b32_e64 v116, v64, v116, s[40:41]                // 00000000F498: D1000074 00A2E940
	v_cmp_lt_u32_e64 s[40:41], v241, v65                       // 00000000F4A0: D0C90028 000283F1
	v_add_u32_e32 v241, 64, v241                               // 00000000F4A8: 69E3E2C0
	s_nop 0                                                    // 00000000F4AC: BF800000
	v_cndmask_b32_e64 v117, v64, v117, s[40:41]                // 00000000F4B0: D1000075 00A2EB40
	v_cmp_lt_u32_e64 s[40:41], v242, v65                       // 00000000F4B8: D0C90028 000283F2
	v_add_u32_e32 v242, 64, v242                               // 00000000F4C0: 69E5E4C0
	s_nop 0                                                    // 00000000F4C4: BF800000
	v_cndmask_b32_e64 v118, v64, v118, s[40:41]                // 00000000F4C8: D1000076 00A2ED40
	v_cmp_lt_u32_e64 s[40:41], v243, v65                       // 00000000F4D0: D0C90028 000283F3
	v_add_u32_e32 v243, 64, v243                               // 00000000F4D8: 69E7E6C0
	s_nop 0                                                    // 00000000F4DC: BF800000
	v_cndmask_b32_e64 v119, v64, v119, s[40:41]                // 00000000F4E0: D1000077 00A2EF40
	v_cmp_lt_u32_e64 s[40:41], v240, v65                       // 00000000F4E8: D0C90028 000283F0
	v_add_u32_e32 v240, 64, v240                               // 00000000F4F0: 69E1E0C0
	s_nop 0                                                    // 00000000F4F4: BF800000
	v_cndmask_b32_e64 v120, v64, v120, s[40:41]                // 00000000F4F8: D1000078 00A2F140
	v_cmp_lt_u32_e64 s[40:41], v241, v65                       // 00000000F500: D0C90028 000283F1
	v_add_u32_e32 v241, 64, v241                               // 00000000F508: 69E3E2C0
	s_nop 0                                                    // 00000000F50C: BF800000
	v_cndmask_b32_e64 v121, v64, v121, s[40:41]                // 00000000F510: D1000079 00A2F340
	v_cmp_lt_u32_e64 s[40:41], v242, v65                       // 00000000F518: D0C90028 000283F2
	v_add_u32_e32 v242, 64, v242                               // 00000000F520: 69E5E4C0
	s_nop 0                                                    // 00000000F524: BF800000
	v_cndmask_b32_e64 v122, v64, v122, s[40:41]                // 00000000F528: D100007A 00A2F540
	v_cmp_lt_u32_e64 s[40:41], v243, v65                       // 00000000F530: D0C90028 000283F3
	v_add_u32_e32 v243, 64, v243                               // 00000000F538: 69E7E6C0
	s_nop 0                                                    // 00000000F53C: BF800000
	v_cndmask_b32_e64 v123, v64, v123, s[40:41]                // 00000000F540: D100007B 00A2F740
	v_cmp_lt_u32_e64 s[40:41], v240, v65                       // 00000000F548: D0C90028 000283F0
	v_add_u32_e32 v240, 64, v240                               // 00000000F550: 69E1E0C0
	s_nop 0                                                    // 00000000F554: BF800000
	v_cndmask_b32_e64 v124, v64, v124, s[40:41]                // 00000000F558: D100007C 00A2F940
	v_cmp_lt_u32_e64 s[40:41], v241, v65                       // 00000000F560: D0C90028 000283F1
	v_add_u32_e32 v241, 64, v241                               // 00000000F568: 69E3E2C0
	s_nop 0                                                    // 00000000F56C: BF800000
	v_cndmask_b32_e64 v125, v64, v125, s[40:41]                // 00000000F570: D100007D 00A2FB40
	v_cmp_lt_u32_e64 s[40:41], v242, v65                       // 00000000F578: D0C90028 000283F2
	v_add_u32_e32 v242, 64, v242                               // 00000000F580: 69E5E4C0
	s_nop 0                                                    // 00000000F584: BF800000
	v_cndmask_b32_e64 v126, v64, v126, s[40:41]                // 00000000F588: D100007E 00A2FD40
	v_cmp_lt_u32_e64 s[40:41], v243, v65                       // 00000000F590: D0C90028 000283F3
	v_add_u32_e32 v243, 64, v243                               // 00000000F598: 69E7E6C0
	s_nop 0                                                    // 00000000F59C: BF800000
	v_cndmask_b32_e64 v127, v64, v127, s[40:41]                // 00000000F5A0: D100007F 00A2FF40
	v_mov_b32_e32 v48, v112                                    // 00000000F5A8: 7E600370
	v_max3_f32 v48, v112, v113, v48                            // 00000000F5AC: D1D30030 04C2E370
	v_max3_f32 v48, v114, v115, v48                            // 00000000F5B4: D1D30030 04C2E772
	v_max3_f32 v48, v116, v117, v48                            // 00000000F5BC: D1D30030 04C2EB74
	v_max3_f32 v48, v118, v119, v48                            // 00000000F5C4: D1D30030 04C2EF76
	v_max3_f32 v48, v120, v121, v48                            // 00000000F5CC: D1D30030 04C2F378
	v_max3_f32 v48, v122, v123, v48                            // 00000000F5D4: D1D30030 04C2F77A
	v_max3_f32 v48, v124, v125, v48                            // 00000000F5DC: D1D30030 04C2FB7C
	v_max3_f32 v48, v126, v127, v48                            // 00000000F5E4: D1D30030 04C2FF7E
	ds_write_b32 v8, v48 offset:16896                          // 00000000F5EC: D81A4200 00003008
	v_mul_u32_u24_dpp v64, v16, v54 row_newbcast:1 row_mask:0xf bank_mask:0xf// 00000000F5F4: 10806CFA FF015110
	v_mul_u32_u24_dpp v65, v16, v54 row_newbcast:5 row_mask:0xf bank_mask:0xf// 00000000F5FC: 10826CFA FF015510
	v_mul_u32_u24_dpp v66, v16, v54 row_newbcast:9 row_mask:0xf bank_mask:0xf// 00000000F604: 10846CFA FF015910
	v_mul_u32_u24_dpp v67, v16, v54 row_newbcast:13 row_mask:0xf bank_mask:0xf// 00000000F60C: 10866CFA FF015D10
	v_add_u32_e32 v30, v64, v6                                 // 00000000F614: 683C0D40
	v_add_u32_e32 v31, v65, v6                                 // 00000000F618: 683E0D41
	v_add_u32_e32 v32, v66, v6                                 // 00000000F61C: 68400D42
	v_add_u32_e32 v33, v67, v6                                 // 00000000F620: 68420D43
	v_mul_f32_e32 v208, v49, v208                              // 00000000F624: 0BA1A131
	v_mul_f32_e32 v209, v49, v209                              // 00000000F628: 0BA3A331
	v_mul_f32_e32 v210, v49, v210                              // 00000000F62C: 0BA5A531
	v_mul_f32_e32 v211, v49, v211                              // 00000000F630: 0BA7A731
	v_mul_f32_e32 v212, v49, v212                              // 00000000F634: 0BA9A931
	v_mul_f32_e32 v213, v49, v213                              // 00000000F638: 0BABAB31
	v_mul_f32_e32 v214, v49, v214                              // 00000000F63C: 0BADAD31
	v_mul_f32_e32 v215, v49, v215                              // 00000000F640: 0BAFAF31
	s_waitcnt lgkmcnt(0)                                       // 00000000F644: BF8CC07F
	s_barrier                                                  // 00000000F648: BF8A0000
	ds_read_b32 v64, v7 offset:16896                           // 00000000F64C: D86C4200 40000007
	ds_read_b32 v65, v7 offset:16960                           // 00000000F654: D86C4240 41000007
	ds_read_b32 v66, v7 offset:17024                           // 00000000F65C: D86C4280 42000007
	ds_read_b32 v67, v7 offset:17088                           // 00000000F664: D86C42C0 43000007
	ds_read_b32 v68, v7 offset:17152                           // 00000000F66C: D86C4300 44000007
	ds_read_b32 v69, v7 offset:17216                           // 00000000F674: D86C4340 45000007
	ds_read_b32 v70, v7 offset:17280                           // 00000000F67C: D86C4380 46000007
	ds_read_b32 v71, v7 offset:17344                           // 00000000F684: D86C43C0 47000007
	ds_read_b32 v72, v7 offset:17408                           // 00000000F68C: D86C4400 48000007
	ds_read_b32 v73, v7 offset:17472                           // 00000000F694: D86C4440 49000007
	ds_read_b32 v74, v7 offset:17536                           // 00000000F69C: D86C4480 4A000007
	ds_read_b32 v75, v7 offset:17600                           // 00000000F6A4: D86C44C0 4B000007
	ds_read_b32 v76, v7 offset:17664                           // 00000000F6AC: D86C4500 4C000007
	ds_read_b32 v77, v7 offset:17728                           // 00000000F6B4: D86C4540 4D000007
	ds_read_b32 v78, v7 offset:17792                           // 00000000F6BC: D86C4580 4E000007
	ds_read_b32 v79, v7 offset:17856                           // 00000000F6C4: D86C45C0 4F000007
	v_cvt_f32_i32_e32 v176, v176                               // 00000000F6CC: 7F600BB0
	v_cvt_f32_i32_e32 v177, v177                               // 00000000F6D0: 7F620BB1
	v_cvt_f32_i32_e32 v178, v178                               // 00000000F6D4: 7F640BB2
	v_cvt_f32_i32_e32 v179, v179                               // 00000000F6D8: 7F660BB3
	v_cvt_f32_i32_e32 v180, v180                               // 00000000F6DC: 7F680BB4
	v_cvt_f32_i32_e32 v181, v181                               // 00000000F6E0: 7F6A0BB5
	v_cvt_f32_i32_e32 v182, v182                               // 00000000F6E4: 7F6C0BB6
	v_cvt_f32_i32_e32 v183, v183                               // 00000000F6E8: 7F6E0BB7
	v_mul_f32_e32 v176, v44, v176                              // 00000000F6EC: 0B61612C
	v_mul_f32_e32 v177, v44, v177                              // 00000000F6F0: 0B63632C
	v_mul_f32_e32 v178, v44, v178                              // 00000000F6F4: 0B65652C
	v_mul_f32_e32 v179, v44, v179                              // 00000000F6F8: 0B67672C
	v_mul_f32_e32 v180, v44, v180                              // 00000000F6FC: 0B69692C
	v_mul_f32_e32 v181, v44, v181                              // 00000000F700: 0B6B6B2C
	v_mul_f32_e32 v182, v44, v182                              // 00000000F704: 0B6D6D2C
	v_mul_f32_e32 v183, v44, v183                              // 00000000F708: 0B6F6F2C
	s_waitcnt lgkmcnt(0)                                       // 00000000F70C: BF8CC07F
	v_max3_f32 v48, v64, v65, v48                              // 00000000F710: D1D30030 04C28340
	v_max3_f32 v48, v66, v67, v48                              // 00000000F718: D1D30030 04C28742
	v_max3_f32 v48, v68, v69, v48                              // 00000000F720: D1D30030 04C28B44
	v_max3_f32 v48, v70, v71, v48                              // 00000000F728: D1D30030 04C28F46
	v_max3_f32 v48, v72, v73, v48                              // 00000000F730: D1D30030 04C29348
	v_max3_f32 v48, v74, v75, v48                              // 00000000F738: D1D30030 04C2974A
	v_max3_f32 v48, v76, v77, v48                              // 00000000F740: D1D30030 04C29B4C
	v_max3_f32 v48, v78, v79, v48                              // 00000000F748: D1D30030 04C29F4E
	v_mov_b32_e32 v64, 0xff800000                              // 00000000F750: 7E8002FF FF800000
	v_cmp_eq_u32_e64 s[40:41], v64, v11                        // 00000000F758: D0CA0028 00021740
	s_nop 1                                                    // 00000000F760: BF800001
	v_max_f32_e32 v15, v48, v11                                // 00000000F764: 161E1730
	v_mul_f32_e32 v53, s64, v15                                // 00000000F768: 0A6A1E40
	v_fma_f32 v112, v112, s64, -v53                            // 00000000F76C: D1CB0070 84D48170
	v_fma_f32 v113, v113, s64, -v53                            // 00000000F774: D1CB0071 84D48171
	v_fma_f32 v114, v114, s64, -v53                            // 00000000F77C: D1CB0072 84D48172
	v_fma_f32 v115, v115, s64, -v53                            // 00000000F784: D1CB0073 84D48173
	v_fma_f32 v116, v116, s64, -v53                            // 00000000F78C: D1CB0074 84D48174
	v_fma_f32 v117, v117, s64, -v53                            // 00000000F794: D1CB0075 84D48175
	v_fma_f32 v118, v118, s64, -v53                            // 00000000F79C: D1CB0076 84D48176
	v_fma_f32 v119, v119, s64, -v53                            // 00000000F7A4: D1CB0077 84D48177
	v_fma_f32 v120, v120, s64, -v53                            // 00000000F7AC: D1CB0078 84D48178
	v_fma_f32 v121, v121, s64, -v53                            // 00000000F7B4: D1CB0079 84D48179
	v_fma_f32 v122, v122, s64, -v53                            // 00000000F7BC: D1CB007A 84D4817A
	v_fma_f32 v123, v123, s64, -v53                            // 00000000F7C4: D1CB007B 84D4817B
	v_fma_f32 v124, v124, s64, -v53                            // 00000000F7CC: D1CB007C 84D4817C
	v_fma_f32 v125, v125, s64, -v53                            // 00000000F7D4: D1CB007D 84D4817D
	v_fma_f32 v126, v126, s64, -v53                            // 00000000F7DC: D1CB007E 84D4817E
	v_fma_f32 v127, v127, s64, -v53                            // 00000000F7E4: D1CB007F 84D4817F
	v_exp_f32_e32 v112, v112                                   // 00000000F7EC: 7EE04170
	v_exp_f32_e32 v113, v113                                   // 00000000F7F0: 7EE24171
	v_exp_f32_e32 v114, v114                                   // 00000000F7F4: 7EE44172
	v_exp_f32_e32 v115, v115                                   // 00000000F7F8: 7EE64173
	v_exp_f32_e32 v116, v116                                   // 00000000F7FC: 7EE84174
	v_exp_f32_e32 v117, v117                                   // 00000000F800: 7EEA4175
	v_exp_f32_e32 v118, v118                                   // 00000000F804: 7EEC4176
	v_exp_f32_e32 v119, v119                                   // 00000000F808: 7EEE4177
	v_exp_f32_e32 v120, v120                                   // 00000000F80C: 7EF04178
	v_exp_f32_e32 v121, v121                                   // 00000000F810: 7EF24179
	v_exp_f32_e32 v122, v122                                   // 00000000F814: 7EF4417A
	v_exp_f32_e32 v123, v123                                   // 00000000F818: 7EF6417B
	v_exp_f32_e32 v124, v124                                   // 00000000F81C: 7EF8417C
	v_exp_f32_e32 v125, v125                                   // 00000000F820: 7EFA417D
	v_exp_f32_e32 v126, v126                                   // 00000000F824: 7EFC417E
	v_exp_f32_e32 v127, v127                                   // 00000000F828: 7EFE417F
	v_mul_f32_dpp v240, v252, v112 quad_perm:[0,0,0,0] row_mask:0xf bank_mask:0xf// 00000000F82C: 0BE0E0FA FF0000FC
	v_mul_f32_dpp v241, v252, v113 quad_perm:[1,1,1,1] row_mask:0xf bank_mask:0xf// 00000000F834: 0BE2E2FA FF0055FC
	v_mul_f32_dpp v242, v252, v114 quad_perm:[2,2,2,2] row_mask:0xf bank_mask:0xf// 00000000F83C: 0BE4E4FA FF00AAFC
	v_mul_f32_dpp v243, v252, v115 quad_perm:[3,3,3,3] row_mask:0xf bank_mask:0xf// 00000000F844: 0BE6E6FA FF00FFFC
	v_mul_f32_dpp v244, v253, v116 quad_perm:[0,0,0,0] row_mask:0xf bank_mask:0xf// 00000000F84C: 0BE8E8FA FF0000FD
	v_mul_f32_dpp v245, v253, v117 quad_perm:[1,1,1,1] row_mask:0xf bank_mask:0xf// 00000000F854: 0BEAEAFA FF0055FD
	v_mul_f32_dpp v246, v253, v118 quad_perm:[2,2,2,2] row_mask:0xf bank_mask:0xf// 00000000F85C: 0BECECFA FF00AAFD
	v_mul_f32_dpp v247, v253, v119 quad_perm:[3,3,3,3] row_mask:0xf bank_mask:0xf// 00000000F864: 0BEEEEFA FF00FFFD
	v_mul_f32_dpp v248, v254, v120 quad_perm:[0,0,0,0] row_mask:0xf bank_mask:0xf// 00000000F86C: 0BF0F0FA FF0000FE
	v_mul_f32_dpp v249, v254, v121 quad_perm:[1,1,1,1] row_mask:0xf bank_mask:0xf// 00000000F874: 0BF2F2FA FF0055FE
	v_mul_f32_dpp v250, v254, v122 quad_perm:[2,2,2,2] row_mask:0xf bank_mask:0xf// 00000000F87C: 0BF4F4FA FF00AAFE
	v_mul_f32_dpp v251, v254, v123 quad_perm:[3,3,3,3] row_mask:0xf bank_mask:0xf// 00000000F884: 0BF6F6FA FF00FFFE
	v_mul_f32_dpp v252, v255, v124 quad_perm:[0,0,0,0] row_mask:0xf bank_mask:0xf// 00000000F88C: 0BF8F8FA FF0000FF
	v_mul_f32_dpp v253, v255, v125 quad_perm:[1,1,1,1] row_mask:0xf bank_mask:0xf// 00000000F894: 0BFAFAFA FF0055FF
	v_mul_f32_dpp v254, v255, v126 quad_perm:[2,2,2,2] row_mask:0xf bank_mask:0xf// 00000000F89C: 0BFCFCFA FF00AAFF
	v_mul_f32_dpp v255, v255, v127 quad_perm:[3,3,3,3] row_mask:0xf bank_mask:0xf// 00000000F8A4: 0BFEFEFA FF00FFFF
	v_mov_b32_e32 v48, 0x358637bd                              // 00000000F8AC: 7E6002FF 358637BD
	v_max3_f32 v48, |v240|, |v241|, v48                        // 00000000F8B4: D1D30330 04C3E3F0
	v_max3_f32 v48, |v242|, |v243|, v48                        // 00000000F8BC: D1D30330 04C3E7F2
	v_max3_f32 v48, |v244|, |v245|, v48                        // 00000000F8C4: D1D30330 04C3EBF4
	v_max3_f32 v48, |v246|, |v247|, v48                        // 00000000F8CC: D1D30330 04C3EFF6
	v_max3_f32 v48, |v248|, |v249|, v48                        // 00000000F8D4: D1D30330 04C3F3F8
	v_max3_f32 v48, |v250|, |v251|, v48                        // 00000000F8DC: D1D30330 04C3F7FA
	v_max3_f32 v48, |v252|, |v253|, v48                        // 00000000F8E4: D1D30330 04C3FBFC
	v_max3_f32 v48, |v254|, |v255|, v48                        // 00000000F8EC: D1D30330 04C3FFFE
	ds_write_b32 v8, v48 offset:20992                          // 00000000F8F4: D81A5200 00003008
	v_sub_f32_e32 v49, v11, v15                                // 00000000F8FC: 04621F0B
	v_cndmask_b32_e64 v49, v49, 0, s[40:41]                    // 00000000F900: D1000031 00A10131
	v_mov_b32_e32 v11, v15                                     // 00000000F908: 7E16030F
	v_mul_f32_e32 v49, s64, v49                                // 00000000F90C: 0A626240
	v_exp_f32_e32 v49, v49                                     // 00000000F910: 7E624131
	s_waitcnt lgkmcnt(0)                                       // 00000000F914: BF8CC07F
	s_barrier                                                  // 00000000F918: BF8A0000
	ds_read_b32 v64, v7 offset:20992                           // 00000000F91C: D86C5200 40000007
	ds_read_b32 v65, v7 offset:21056                           // 00000000F924: D86C5240 41000007
	ds_read_b32 v66, v7 offset:21120                           // 00000000F92C: D86C5280 42000007
	ds_read_b32 v67, v7 offset:21184                           // 00000000F934: D86C52C0 43000007
	ds_read_b32 v68, v7 offset:21248                           // 00000000F93C: D86C5300 44000007
	ds_read_b32 v69, v7 offset:21312                           // 00000000F944: D86C5340 45000007
	ds_read_b32 v70, v7 offset:21376                           // 00000000F94C: D86C5380 46000007
	ds_read_b32 v71, v7 offset:21440                           // 00000000F954: D86C53C0 47000007
	ds_read_b32 v72, v7 offset:21504                           // 00000000F95C: D86C5400 48000007
	ds_read_b32 v73, v7 offset:21568                           // 00000000F964: D86C5440 49000007
	ds_read_b32 v74, v7 offset:21632                           // 00000000F96C: D86C5480 4A000007
	ds_read_b32 v75, v7 offset:21696                           // 00000000F974: D86C54C0 4B000007
	ds_read_b32 v76, v7 offset:21760                           // 00000000F97C: D86C5500 4C000007
	ds_read_b32 v77, v7 offset:21824                           // 00000000F984: D86C5540 4D000007
	ds_read_b32 v78, v7 offset:21888                           // 00000000F98C: D86C5580 4E000007
	ds_read_b32 v79, v7 offset:21952                           // 00000000F994: D86C55C0 4F000007
	v_mul_f32_e32 v38, v49, v38                                // 00000000F99C: 0A4C4D31
	v_mov_b32_e32 v15, v112                                    // 00000000F9A0: 7E1E0370
	v_add_f32_e32 v15, v113, v15                               // 00000000F9A4: 021E1F71
	v_add_f32_e32 v15, v114, v15                               // 00000000F9A8: 021E1F72
	v_add_f32_e32 v15, v115, v15                               // 00000000F9AC: 021E1F73
	v_add_f32_e32 v15, v116, v15                               // 00000000F9B0: 021E1F74
	v_add_f32_e32 v15, v117, v15                               // 00000000F9B4: 021E1F75
	v_add_f32_e32 v15, v118, v15                               // 00000000F9B8: 021E1F76
	v_add_f32_e32 v15, v119, v15                               // 00000000F9BC: 021E1F77
	v_add_f32_e32 v15, v120, v15                               // 00000000F9C0: 021E1F78
	v_add_f32_e32 v15, v121, v15                               // 00000000F9C4: 021E1F79
	v_add_f32_e32 v15, v122, v15                               // 00000000F9C8: 021E1F7A
	v_add_f32_e32 v15, v123, v15                               // 00000000F9CC: 021E1F7B
	v_add_f32_e32 v15, v124, v15                               // 00000000F9D0: 021E1F7C
	v_add_f32_e32 v15, v125, v15                               // 00000000F9D4: 021E1F7D
	v_add_f32_e32 v15, v126, v15                               // 00000000F9D8: 021E1F7E
	v_add_f32_e32 v15, v127, v15                               // 00000000F9DC: 021E1F7F
	v_add_f32_e32 v38, v15, v38                                // 00000000F9E0: 024C4D0F
	s_waitcnt lgkmcnt(0)                                       // 00000000F9E4: BF8CC07F
	v_max3_f32 v48, |v64|, |v65|, v48                          // 00000000F9E8: D1D30330 04C28340
	v_max3_f32 v48, |v66|, |v67|, v48                          // 00000000F9F0: D1D30330 04C28742
	v_max3_f32 v48, |v68|, |v69|, v48                          // 00000000F9F8: D1D30330 04C28B44
	v_max3_f32 v48, |v70|, |v71|, v48                          // 00000000FA00: D1D30330 04C28F46
	v_max3_f32 v48, |v72|, |v73|, v48                          // 00000000FA08: D1D30330 04C29348
	v_max3_f32 v48, |v74|, |v75|, v48                          // 00000000FA10: D1D30330 04C2974A
	v_max3_f32 v48, |v76|, |v77|, v48                          // 00000000FA18: D1D30330 04C29B4C
	v_max3_f32 v48, |v78|, |v79|, v48                          // 00000000FA20: D1D30330 04C29F4E
	s_nop 2                                                    // 00000000FA28: BF800002
	v_rcp_f32_e32 v48, v48                                     // 00000000FA2C: 7E604530
	s_nop 1                                                    // 00000000FA30: BF800001
	v_mul_f32_e32 v48, 0x42fe0000, v48                         // 00000000FA34: 0A6060FF 42FE0000
	v_mul_f32_e32 v112, v48, v240                              // 00000000FA3C: 0AE1E130
	v_mul_f32_e32 v113, v48, v241                              // 00000000FA40: 0AE3E330
	v_mul_f32_e32 v114, v48, v242                              // 00000000FA44: 0AE5E530
	v_mul_f32_e32 v115, v48, v243                              // 00000000FA48: 0AE7E730
	v_mul_f32_e32 v116, v48, v244                              // 00000000FA4C: 0AE9E930
	v_mul_f32_e32 v117, v48, v245                              // 00000000FA50: 0AEBEB30
	v_mul_f32_e32 v118, v48, v246                              // 00000000FA54: 0AEDED30
	v_mul_f32_e32 v119, v48, v247                              // 00000000FA58: 0AEFEF30
	v_mul_f32_e32 v120, v48, v248                              // 00000000FA5C: 0AF1F130
	v_mul_f32_e32 v121, v48, v249                              // 00000000FA60: 0AF3F330
	v_mul_f32_e32 v122, v48, v250                              // 00000000FA64: 0AF5F530
	v_mul_f32_e32 v123, v48, v251                              // 00000000FA68: 0AF7F730
	v_mul_f32_e32 v124, v48, v252                              // 00000000FA6C: 0AF9F930
	v_mul_f32_e32 v125, v48, v253                              // 00000000FA70: 0AFBFB30
	v_mul_f32_e32 v126, v48, v254                              // 00000000FA74: 0AFDFD30
	v_mul_f32_e32 v127, v48, v255                              // 00000000FA78: 0AFFFF30
	v_cvt_i32_f32_e32 v112, v112                               // 00000000FA7C: 7EE01170
	v_cvt_i32_f32_e32 v113, v113                               // 00000000FA80: 7EE21171
	v_cvt_i32_f32_e32 v114, v114                               // 00000000FA84: 7EE41172
	v_cvt_i32_f32_e32 v115, v115                               // 00000000FA88: 7EE61173
	v_cvt_i32_f32_e32 v116, v116                               // 00000000FA8C: 7EE81174
	v_cvt_i32_f32_e32 v117, v117                               // 00000000FA90: 7EEA1175
	v_cvt_i32_f32_e32 v118, v118                               // 00000000FA94: 7EEC1176
	v_cvt_i32_f32_e32 v119, v119                               // 00000000FA98: 7EEE1177
	v_cvt_i32_f32_e32 v120, v120                               // 00000000FA9C: 7EF01178
	v_cvt_i32_f32_e32 v121, v121                               // 00000000FAA0: 7EF21179
	v_cvt_i32_f32_e32 v122, v122                               // 00000000FAA4: 7EF4117A
	v_cvt_i32_f32_e32 v123, v123                               // 00000000FAA8: 7EF6117B
	v_cvt_i32_f32_e32 v124, v124                               // 00000000FAAC: 7EF8117C
	v_cvt_i32_f32_e32 v125, v125                               // 00000000FAB0: 7EFA117D
	v_cvt_i32_f32_e32 v126, v126                               // 00000000FAB4: 7EFC117E
	v_cvt_i32_f32_e32 v127, v127                               // 00000000FAB8: 7EFE117F
	v_perm_b32 v112, v113, v112, s53                           // 00000000FABC: D1ED0070 00D6E171
	v_perm_b32 v112, v114, v112, s54                           // 00000000FAC4: D1ED0070 00DAE172
	v_perm_b32 v112, v115, v112, s55                           // 00000000FACC: D1ED0070 00DEE173
	v_perm_b32 v113, v117, v116, s53                           // 00000000FAD4: D1ED0071 00D6E975
	v_perm_b32 v113, v118, v113, s54                           // 00000000FADC: D1ED0071 00DAE376
	v_perm_b32 v113, v119, v113, s55                           // 00000000FAE4: D1ED0071 00DEE377
	v_perm_b32 v114, v121, v120, s53                           // 00000000FAEC: D1ED0072 00D6F179
	v_perm_b32 v114, v122, v114, s54                           // 00000000FAF4: D1ED0072 00DAE57A
	v_perm_b32 v114, v123, v114, s55                           // 00000000FAFC: D1ED0072 00DEE57B
	v_perm_b32 v115, v125, v124, s53                           // 00000000FB04: D1ED0073 00D6F97D
	v_perm_b32 v115, v126, v115, s54                           // 00000000FB0C: D1ED0073 00DAE77E
	v_perm_b32 v115, v127, v115, s55                           // 00000000FB14: D1ED0073 00DEE77F
	ds_write_b32 v10, v112 offset:25088                        // 00000000FB1C: D81A6200 0000700A
	ds_write_b32 v10, v113 offset:26112                        // 00000000FB24: D81A6600 0000710A
	ds_write_b32 v10, v114 offset:27136                        // 00000000FB2C: D81A6A00 0000720A
	ds_write_b32 v10, v115 offset:28160                        // 00000000FB34: D81A6E00 0000730A
	v_add_f32_e32 v208, v208, v176                             // 00000000FB3C: 03A161D0
	v_add_f32_e32 v209, v209, v177                             // 00000000FB40: 03A363D1
	v_add_f32_e32 v210, v210, v178                             // 00000000FB44: 03A565D2
	v_add_f32_e32 v211, v211, v179                             // 00000000FB48: 03A767D3
	v_add_f32_e32 v212, v212, v180                             // 00000000FB4C: 03A969D4
	v_add_f32_e32 v213, v213, v181                             // 00000000FB50: 03AB6BD5
	v_add_f32_e32 v214, v214, v182                             // 00000000FB54: 03AD6DD6
	v_add_f32_e32 v215, v215, v183                             // 00000000FB58: 03AF6FD7
	v_rcp_f32_e32 v44, v48                                     // 00000000FB5C: 7E584530
	s_waitcnt lgkmcnt(0)                                       // 00000000FB60: BF8CC07F
	s_barrier                                                  // 00000000FB64: BF8A0000
	ds_read_b64 v[112:113], v9 offset:25088                    // 00000000FB68: D8EC6200 70000009
	ds_read_b64 v[114:115], v9 offset:25216                    // 00000000FB70: D8EC6280 72000009
	ds_read_b64 v[116:117], v9 offset:26112                    // 00000000FB78: D8EC6600 74000009
	ds_read_b64 v[118:119], v9 offset:26240                    // 00000000FB80: D8EC6680 76000009
	ds_read_b64 v[120:121], v9 offset:27136                    // 00000000FB88: D8EC6A00 78000009
	ds_read_b64 v[122:123], v9 offset:27264                    // 00000000FB90: D8EC6A80 7A000009
	ds_read_b64 v[124:125], v9 offset:28160                    // 00000000FB98: D8EC6E00 7C000009
	ds_read_b64 v[126:127], v9 offset:28288                    // 00000000FBA0: D8EC6E80 7E000009
	v_mov_b32_dpp v64, v43 row_shr:4 row_mask:0xf bank_mask:0xf// 00000000FBA8: 7E8002FA FF01142B
	v_mov_b32_dpp v65, v43 row_shl:4 row_mask:0xf bank_mask:0xf// 00000000FBB0: 7E8202FA FF01042B
	v_cndmask_b32_e64 v248, v43, v64, s[44:45]                 // 00000000FBB8: D10000F8 00B2812B
	v_cndmask_b32_e64 v249, v65, v43, s[44:45]                 // 00000000FBC0: D10000F9 00B25741
	v_mov_b32_dpp v64, v248 row_shr:8 row_mask:0xf bank_mask:0xf// 00000000FBC8: 7E8002FA FF0118F8
	v_mov_b32_dpp v65, v248 row_shl:8 row_mask:0xf bank_mask:0xf// 00000000FBD0: 7E8202FA FF0108F8
	v_mov_b32_dpp v66, v249 row_shr:8 row_mask:0xf bank_mask:0xf// 00000000FBD8: 7E8402FA FF0118F9
	v_mov_b32_dpp v67, v249 row_shl:8 row_mask:0xf bank_mask:0xf// 00000000FBE0: 7E8602FA FF0108F9
	v_mov_b32_e32 v68, v248                                    // 00000000FBE8: 7E8803F8
	v_mov_b32_e32 v69, v249                                    // 00000000FBEC: 7E8A03F9
	v_cndmask_b32_e64 v248, v68, v64, s[42:43]                 // 00000000FBF0: D10000F8 00AA8144
	v_cndmask_b32_e64 v250, v68, v65, s[78:79]                 // 00000000FBF8: D10000FA 013A8344
	v_cndmask_b32_e64 v249, v69, v66, s[42:43]                 // 00000000FC00: D10000F9 00AA8545
	v_cndmask_b32_e64 v251, v69, v67, s[78:79]                 // 00000000FC08: D10000FB 013A8745
	v_mov_b32_dpp v64, v58 row_shr:4 row_mask:0xf bank_mask:0xf// 00000000FC10: 7E8002FA FF01143A
	v_mov_b32_dpp v65, v58 row_shl:4 row_mask:0xf bank_mask:0xf// 00000000FC18: 7E8202FA FF01043A
	v_cndmask_b32_e64 v252, v58, v64, s[44:45]                 // 00000000FC20: D10000FC 00B2813A
	v_cndmask_b32_e64 v253, v65, v58, s[44:45]                 // 00000000FC28: D10000FD 00B27541
	v_mov_b32_dpp v64, v252 row_shr:8 row_mask:0xf bank_mask:0xf// 00000000FC30: 7E8002FA FF0118FC
	v_mov_b32_dpp v65, v252 row_shl:8 row_mask:0xf bank_mask:0xf// 00000000FC38: 7E8202FA FF0108FC
	v_mov_b32_dpp v66, v253 row_shr:8 row_mask:0xf bank_mask:0xf// 00000000FC40: 7E8402FA FF0118FD
	v_mov_b32_dpp v67, v253 row_shl:8 row_mask:0xf bank_mask:0xf// 00000000FC48: 7E8602FA FF0108FD
	v_mov_b32_e32 v68, v252                                    // 00000000FC50: 7E8803FC
	v_mov_b32_e32 v69, v253                                    // 00000000FC54: 7E8A03FD
	v_cndmask_b32_e64 v252, v68, v64, s[42:43]                 // 00000000FC58: D10000FC 00AA8144
	v_cndmask_b32_e64 v254, v68, v65, s[78:79]                 // 00000000FC60: D10000FE 013A8344
	v_cndmask_b32_e64 v253, v69, v66, s[42:43]                 // 00000000FC68: D10000FD 00AA8545
	v_cndmask_b32_e64 v255, v69, v67, s[78:79]                 // 00000000FC70: D10000FF 013A8745
	v_cvt_f32_i32_e32 v128, v128                               // 00000000FC78: 7F000B80
	v_cvt_f32_i32_e32 v129, v129                               // 00000000FC7C: 7F020B81
	v_cvt_f32_i32_e32 v130, v130                               // 00000000FC80: 7F040B82
	v_cvt_f32_i32_e32 v131, v131                               // 00000000FC84: 7F060B83
	v_cvt_f32_i32_e32 v132, v132                               // 00000000FC88: 7F080B84
	v_cvt_f32_i32_e32 v133, v133                               // 00000000FC8C: 7F0A0B85
	v_cvt_f32_i32_e32 v134, v134                               // 00000000FC90: 7F0C0B86
	v_cvt_f32_i32_e32 v135, v135                               // 00000000FC94: 7F0E0B87
	v_cvt_f32_i32_e32 v136, v136                               // 00000000FC98: 7F100B88
	v_cvt_f32_i32_e32 v137, v137                               // 00000000FC9C: 7F120B89
	v_cvt_f32_i32_e32 v138, v138                               // 00000000FCA0: 7F140B8A
	v_cvt_f32_i32_e32 v139, v139                               // 00000000FCA4: 7F160B8B
	v_cvt_f32_i32_e32 v140, v140                               // 00000000FCA8: 7F180B8C
	v_cvt_f32_i32_e32 v141, v141                               // 00000000FCAC: 7F1A0B8D
	v_cvt_f32_i32_e32 v142, v142                               // 00000000FCB0: 7F1C0B8E
	v_cvt_f32_i32_e32 v143, v143                               // 00000000FCB4: 7F1E0B8F
	v_mul_f32_e32 v128, v19, v128                              // 00000000FCB8: 0B010113
	v_mul_f32_e32 v129, v19, v129                              // 00000000FCBC: 0B030313
	v_mul_f32_e32 v130, v19, v130                              // 00000000FCC0: 0B050513
	v_mul_f32_e32 v131, v19, v131                              // 00000000FCC4: 0B070713
	v_mul_f32_e32 v132, v19, v132                              // 00000000FCC8: 0B090913
	v_mul_f32_e32 v133, v19, v133                              // 00000000FCCC: 0B0B0B13
	v_mul_f32_e32 v134, v19, v134                              // 00000000FCD0: 0B0D0D13
	v_mul_f32_e32 v135, v19, v135                              // 00000000FCD4: 0B0F0F13
	v_mul_f32_e32 v136, v19, v136                              // 00000000FCD8: 0B111113
	v_mul_f32_e32 v137, v19, v137                              // 00000000FCDC: 0B131313
	v_mul_f32_e32 v138, v19, v138                              // 00000000FCE0: 0B151513
	v_mul_f32_e32 v139, v19, v139                              // 00000000FCE4: 0B171713
	v_mul_f32_e32 v140, v19, v140                              // 00000000FCE8: 0B191913
	v_mul_f32_e32 v141, v19, v141                              // 00000000FCEC: 0B1B1B13
	v_mul_f32_e32 v142, v19, v142                              // 00000000FCF0: 0B1D1D13
	v_mul_f32_e32 v143, v19, v143                              // 00000000FCF4: 0B1F1F13
	v_mul_f32_dpp v128, v248, v128 quad_perm:[0,0,0,0] row_mask:0xf bank_mask:0xf// 00000000FCF8: 0B0100FA FF0000F8
	v_mul_f32_dpp v129, v248, v129 quad_perm:[1,1,1,1] row_mask:0xf bank_mask:0xf// 00000000FD00: 0B0302FA FF0055F8
	v_mul_f32_dpp v130, v248, v130 quad_perm:[2,2,2,2] row_mask:0xf bank_mask:0xf// 00000000FD08: 0B0504FA FF00AAF8
	v_mul_f32_dpp v131, v248, v131 quad_perm:[3,3,3,3] row_mask:0xf bank_mask:0xf// 00000000FD10: 0B0706FA FF00FFF8
	v_mul_f32_dpp v132, v249, v132 quad_perm:[0,0,0,0] row_mask:0xf bank_mask:0xf// 00000000FD18: 0B0908FA FF0000F9
	v_mul_f32_dpp v133, v249, v133 quad_perm:[1,1,1,1] row_mask:0xf bank_mask:0xf// 00000000FD20: 0B0B0AFA FF0055F9
	v_mul_f32_dpp v134, v249, v134 quad_perm:[2,2,2,2] row_mask:0xf bank_mask:0xf// 00000000FD28: 0B0D0CFA FF00AAF9
	v_mul_f32_dpp v135, v249, v135 quad_perm:[3,3,3,3] row_mask:0xf bank_mask:0xf// 00000000FD30: 0B0F0EFA FF00FFF9
	v_mul_f32_dpp v136, v250, v136 quad_perm:[0,0,0,0] row_mask:0xf bank_mask:0xf// 00000000FD38: 0B1110FA FF0000FA
	v_mul_f32_dpp v137, v250, v137 quad_perm:[1,1,1,1] row_mask:0xf bank_mask:0xf// 00000000FD40: 0B1312FA FF0055FA
	v_mul_f32_dpp v138, v250, v138 quad_perm:[2,2,2,2] row_mask:0xf bank_mask:0xf// 00000000FD48: 0B1514FA FF00AAFA
	v_mul_f32_dpp v139, v250, v139 quad_perm:[3,3,3,3] row_mask:0xf bank_mask:0xf// 00000000FD50: 0B1716FA FF00FFFA
	v_mul_f32_dpp v140, v251, v140 quad_perm:[0,0,0,0] row_mask:0xf bank_mask:0xf// 00000000FD58: 0B1918FA FF0000FB
	v_mul_f32_dpp v141, v251, v141 quad_perm:[1,1,1,1] row_mask:0xf bank_mask:0xf// 00000000FD60: 0B1B1AFA FF0055FB
	v_mul_f32_dpp v142, v251, v142 quad_perm:[2,2,2,2] row_mask:0xf bank_mask:0xf// 00000000FD68: 0B1D1CFA FF00AAFB
	v_mul_f32_dpp v143, v251, v143 quad_perm:[3,3,3,3] row_mask:0xf bank_mask:0xf// 00000000FD70: 0B1F1EFA FF00FFFB
	s_cmp_le_i32 s90, s89                                      // 00000000FD78: BF05595A
	s_cbranch_scc1 label_3751                                  // 00000000FD7C: BF850071
	v_mov_b32_e32 v66, 0xff800000                              // 00000000FD80: 7E8402FF FF800000
	s_mov_b32 s60, s90                                         // 00000000FD88: BEBC005A
	s_add_u32 s61, s89, 0xff                                   // 00000000FD8C: 803DFF59 000000FF
	v_mov_b32_e32 v64, s61                                     // 00000000FD94: 7E80023D
	v_lshrrev_b32_e32 v240, 4, v0                              // 00000000FD98: 21E00084
	v_mul_i32_i24_e32 v240, 4, v240                            // 00000000FD9C: 0DE1E084
	v_add_u32_e32 v240, s60, v240                              // 00000000FDA0: 69E1E03C
	s_mov_b32 s61, 1                                           // 00000000FDA4: BEBD0081
	s_mul_i32 s60, 16, s7                                      // 00000000FDA8: 923C0790
	v_sub_u32_e64 v240, v240, s61                              // 00000000FDAC: D13500F0 00007BF0
	v_add_u32_e32 v240, s60, v240                              // 00000000FDB4: 69E1E03C
	v_add_u32_e32 v241, 1, v240                                // 00000000FDB8: 69E3E081
	v_add_u32_e32 v242, 2, v240                                // 00000000FDBC: 69E5E082
	v_add_u32_e32 v243, 3, v240                                // 00000000FDC0: 69E7E083
	v_cmp_le_u32_e64 s[40:41], v240, v64                       // 00000000FDC4: D0CB0028 000281F0
	v_add_u32_e32 v240, 64, v240                               // 00000000FDCC: 69E1E0C0
	s_nop 0                                                    // 00000000FDD0: BF800000
	v_cndmask_b32_e64 v128, v66, v128, s[40:41]                // 00000000FDD4: D1000080 00A30142
	v_cmp_le_u32_e64 s[40:41], v241, v64                       // 00000000FDDC: D0CB0028 000281F1
	v_add_u32_e32 v241, 64, v241                               // 00000000FDE4: 69E3E2C0
	s_nop 0                                                    // 00000000FDE8: BF800000
	v_cndmask_b32_e64 v129, v66, v129, s[40:41]                // 00000000FDEC: D1000081 00A30342
	v_cmp_le_u32_e64 s[40:41], v242, v64                       // 00000000FDF4: D0CB0028 000281F2
	v_add_u32_e32 v242, 64, v242                               // 00000000FDFC: 69E5E4C0
	s_nop 0                                                    // 00000000FE00: BF800000
	v_cndmask_b32_e64 v130, v66, v130, s[40:41]                // 00000000FE04: D1000082 00A30542
	v_cmp_le_u32_e64 s[40:41], v243, v64                       // 00000000FE0C: D0CB0028 000281F3
	v_add_u32_e32 v243, 64, v243                               // 00000000FE14: 69E7E6C0
	s_nop 0                                                    // 00000000FE18: BF800000
	v_cndmask_b32_e64 v131, v66, v131, s[40:41]                // 00000000FE1C: D1000083 00A30742
	v_cmp_le_u32_e64 s[40:41], v240, v64                       // 00000000FE24: D0CB0028 000281F0
	v_add_u32_e32 v240, 64, v240                               // 00000000FE2C: 69E1E0C0
	s_nop 0                                                    // 00000000FE30: BF800000
	v_cndmask_b32_e64 v132, v66, v132, s[40:41]                // 00000000FE34: D1000084 00A30942
	v_cmp_le_u32_e64 s[40:41], v241, v64                       // 00000000FE3C: D0CB0028 000281F1
	v_add_u32_e32 v241, 64, v241                               // 00000000FE44: 69E3E2C0
	s_nop 0                                                    // 00000000FE48: BF800000
	v_cndmask_b32_e64 v133, v66, v133, s[40:41]                // 00000000FE4C: D1000085 00A30B42
	v_cmp_le_u32_e64 s[40:41], v242, v64                       // 00000000FE54: D0CB0028 000281F2
	v_add_u32_e32 v242, 64, v242                               // 00000000FE5C: 69E5E4C0
	s_nop 0                                                    // 00000000FE60: BF800000
	v_cndmask_b32_e64 v134, v66, v134, s[40:41]                // 00000000FE64: D1000086 00A30D42
	v_cmp_le_u32_e64 s[40:41], v243, v64                       // 00000000FE6C: D0CB0028 000281F3
	v_add_u32_e32 v243, 64, v243                               // 00000000FE74: 69E7E6C0
	s_nop 0                                                    // 00000000FE78: BF800000
	v_cndmask_b32_e64 v135, v66, v135, s[40:41]                // 00000000FE7C: D1000087 00A30F42
	v_cmp_le_u32_e64 s[40:41], v240, v64                       // 00000000FE84: D0CB0028 000281F0
	v_add_u32_e32 v240, 64, v240                               // 00000000FE8C: 69E1E0C0
	s_nop 0                                                    // 00000000FE90: BF800000
	v_cndmask_b32_e64 v136, v66, v136, s[40:41]                // 00000000FE94: D1000088 00A31142
	v_cmp_le_u32_e64 s[40:41], v241, v64                       // 00000000FE9C: D0CB0028 000281F1
	v_add_u32_e32 v241, 64, v241                               // 00000000FEA4: 69E3E2C0
	s_nop 0                                                    // 00000000FEA8: BF800000
	v_cndmask_b32_e64 v137, v66, v137, s[40:41]                // 00000000FEAC: D1000089 00A31342
	v_cmp_le_u32_e64 s[40:41], v242, v64                       // 00000000FEB4: D0CB0028 000281F2
	v_add_u32_e32 v242, 64, v242                               // 00000000FEBC: 69E5E4C0
	s_nop 0                                                    // 00000000FEC0: BF800000
	v_cndmask_b32_e64 v138, v66, v138, s[40:41]                // 00000000FEC4: D100008A 00A31542
	v_cmp_le_u32_e64 s[40:41], v243, v64                       // 00000000FECC: D0CB0028 000281F3
	v_add_u32_e32 v243, 64, v243                               // 00000000FED4: 69E7E6C0
	s_nop 0                                                    // 00000000FED8: BF800000
	v_cndmask_b32_e64 v139, v66, v139, s[40:41]                // 00000000FEDC: D100008B 00A31742
	v_cmp_le_u32_e64 s[40:41], v240, v64                       // 00000000FEE4: D0CB0028 000281F0
	v_add_u32_e32 v240, 64, v240                               // 00000000FEEC: 69E1E0C0
	s_nop 0                                                    // 00000000FEF0: BF800000
	v_cndmask_b32_e64 v140, v66, v140, s[40:41]                // 00000000FEF4: D100008C 00A31942
	v_cmp_le_u32_e64 s[40:41], v241, v64                       // 00000000FEFC: D0CB0028 000281F1
	v_add_u32_e32 v241, 64, v241                               // 00000000FF04: 69E3E2C0
	s_nop 0                                                    // 00000000FF08: BF800000
	v_cndmask_b32_e64 v141, v66, v141, s[40:41]                // 00000000FF0C: D100008D 00A31B42
	v_cmp_le_u32_e64 s[40:41], v242, v64                       // 00000000FF14: D0CB0028 000281F2
	v_add_u32_e32 v242, 64, v242                               // 00000000FF1C: 69E5E4C0
	s_nop 0                                                    // 00000000FF20: BF800000
	v_cndmask_b32_e64 v142, v66, v142, s[40:41]                // 00000000FF24: D100008E 00A31D42
	v_cmp_le_u32_e64 s[40:41], v243, v64                       // 00000000FF2C: D0CB0028 000281F3
	v_add_u32_e32 v243, 64, v243                               // 00000000FF34: 69E7E6C0
	s_nop 0                                                    // 00000000FF38: BF800000
	v_cndmask_b32_e64 v143, v66, v143, s[40:41]                // 00000000FF3C: D100008F 00A31F42

000000000000ff44 <label_3751>:
	s_add_u32 s90, s91, s90                                    // 00000000FF44: 805A5A5B
	s_and_b32 s60, s72, 0xff                                   // 00000000FF48: 863CFF48 000000FF
	v_mov_b32_e32 v65, s60                                     // 00000000FF50: 7E82023C
	v_lshrrev_b32_e32 v240, 4, v0                              // 00000000FF54: 21E00084
	v_mul_i32_i24_e32 v240, 4, v240                            // 00000000FF58: 0DE1E084
	s_mul_i32 s60, s7, 16                                      // 00000000FF5C: 923C9007
	v_add_u32_e32 v240, s60, v240                              // 00000000FF60: 69E1E03C
	v_add_u32_e32 v241, 1, v240                                // 00000000FF64: 69E3E081
	v_add_u32_e32 v242, 2, v240                                // 00000000FF68: 69E5E082
	v_add_u32_e32 v243, 3, v240                                // 00000000FF6C: 69E7E083
	v_mov_b32_e32 v64, 0xff800000                              // 00000000FF70: 7E8002FF FF800000
	v_cmp_lt_u32_e64 s[40:41], v240, v65                       // 00000000FF78: D0C90028 000283F0
	v_add_u32_e32 v240, 64, v240                               // 00000000FF80: 69E1E0C0
	s_nop 0                                                    // 00000000FF84: BF800000
	v_cndmask_b32_e64 v128, v64, v128, s[40:41]                // 00000000FF88: D1000080 00A30140
	v_cmp_lt_u32_e64 s[40:41], v241, v65                       // 00000000FF90: D0C90028 000283F1
	v_add_u32_e32 v241, 64, v241                               // 00000000FF98: 69E3E2C0
	s_nop 0                                                    // 00000000FF9C: BF800000
	v_cndmask_b32_e64 v129, v64, v129, s[40:41]                // 00000000FFA0: D1000081 00A30340
	v_cmp_lt_u32_e64 s[40:41], v242, v65                       // 00000000FFA8: D0C90028 000283F2
	v_add_u32_e32 v242, 64, v242                               // 00000000FFB0: 69E5E4C0
	s_nop 0                                                    // 00000000FFB4: BF800000
	v_cndmask_b32_e64 v130, v64, v130, s[40:41]                // 00000000FFB8: D1000082 00A30540
	v_cmp_lt_u32_e64 s[40:41], v243, v65                       // 00000000FFC0: D0C90028 000283F3
	v_add_u32_e32 v243, 64, v243                               // 00000000FFC8: 69E7E6C0
	s_nop 0                                                    // 00000000FFCC: BF800000
	v_cndmask_b32_e64 v131, v64, v131, s[40:41]                // 00000000FFD0: D1000083 00A30740
	v_cmp_lt_u32_e64 s[40:41], v240, v65                       // 00000000FFD8: D0C90028 000283F0
	v_add_u32_e32 v240, 64, v240                               // 00000000FFE0: 69E1E0C0
	s_nop 0                                                    // 00000000FFE4: BF800000
	v_cndmask_b32_e64 v132, v64, v132, s[40:41]                // 00000000FFE8: D1000084 00A30940
	v_cmp_lt_u32_e64 s[40:41], v241, v65                       // 00000000FFF0: D0C90028 000283F1
	v_add_u32_e32 v241, 64, v241                               // 00000000FFF8: 69E3E2C0
	s_nop 0                                                    // 00000000FFFC: BF800000
	v_cndmask_b32_e64 v133, v64, v133, s[40:41]                // 000000010000: D1000085 00A30B40
	v_cmp_lt_u32_e64 s[40:41], v242, v65                       // 000000010008: D0C90028 000283F2
	v_add_u32_e32 v242, 64, v242                               // 000000010010: 69E5E4C0
	s_nop 0                                                    // 000000010014: BF800000
	v_cndmask_b32_e64 v134, v64, v134, s[40:41]                // 000000010018: D1000086 00A30D40
	v_cmp_lt_u32_e64 s[40:41], v243, v65                       // 000000010020: D0C90028 000283F3
	v_add_u32_e32 v243, 64, v243                               // 000000010028: 69E7E6C0
	s_nop 0                                                    // 00000001002C: BF800000
	v_cndmask_b32_e64 v135, v64, v135, s[40:41]                // 000000010030: D1000087 00A30F40
	v_cmp_lt_u32_e64 s[40:41], v240, v65                       // 000000010038: D0C90028 000283F0
	v_add_u32_e32 v240, 64, v240                               // 000000010040: 69E1E0C0
	s_nop 0                                                    // 000000010044: BF800000
	v_cndmask_b32_e64 v136, v64, v136, s[40:41]                // 000000010048: D1000088 00A31140
	v_cmp_lt_u32_e64 s[40:41], v241, v65                       // 000000010050: D0C90028 000283F1
	v_add_u32_e32 v241, 64, v241                               // 000000010058: 69E3E2C0
	s_nop 0                                                    // 00000001005C: BF800000
	v_cndmask_b32_e64 v137, v64, v137, s[40:41]                // 000000010060: D1000089 00A31340
	v_cmp_lt_u32_e64 s[40:41], v242, v65                       // 000000010068: D0C90028 000283F2
	v_add_u32_e32 v242, 64, v242                               // 000000010070: 69E5E4C0
	s_nop 0                                                    // 000000010074: BF800000
	v_cndmask_b32_e64 v138, v64, v138, s[40:41]                // 000000010078: D100008A 00A31540
	v_cmp_lt_u32_e64 s[40:41], v243, v65                       // 000000010080: D0C90028 000283F3
	v_add_u32_e32 v243, 64, v243                               // 000000010088: 69E7E6C0
	s_nop 0                                                    // 00000001008C: BF800000
	v_cndmask_b32_e64 v139, v64, v139, s[40:41]                // 000000010090: D100008B 00A31740
	v_cmp_lt_u32_e64 s[40:41], v240, v65                       // 000000010098: D0C90028 000283F0
	v_add_u32_e32 v240, 64, v240                               // 0000000100A0: 69E1E0C0
	s_nop 0                                                    // 0000000100A4: BF800000
	v_cndmask_b32_e64 v140, v64, v140, s[40:41]                // 0000000100A8: D100008C 00A31940
	v_cmp_lt_u32_e64 s[40:41], v241, v65                       // 0000000100B0: D0C90028 000283F1
	v_add_u32_e32 v241, 64, v241                               // 0000000100B8: 69E3E2C0
	s_nop 0                                                    // 0000000100BC: BF800000
	v_cndmask_b32_e64 v141, v64, v141, s[40:41]                // 0000000100C0: D100008D 00A31B40
	v_cmp_lt_u32_e64 s[40:41], v242, v65                       // 0000000100C8: D0C90028 000283F2
	v_add_u32_e32 v242, 64, v242                               // 0000000100D0: 69E5E4C0
	s_nop 0                                                    // 0000000100D4: BF800000
	v_cndmask_b32_e64 v142, v64, v142, s[40:41]                // 0000000100D8: D100008E 00A31D40
	v_cmp_lt_u32_e64 s[40:41], v243, v65                       // 0000000100E0: D0C90028 000283F3
	v_add_u32_e32 v243, 64, v243                               // 0000000100E8: 69E7E6C0
	s_nop 0                                                    // 0000000100EC: BF800000
	v_cndmask_b32_e64 v143, v64, v143, s[40:41]                // 0000000100F0: D100008F 00A31F40
	v_mov_b32_e32 v48, v128                                    // 0000000100F8: 7E600380
	v_max3_f32 v48, v128, v129, v48                            // 0000000100FC: D1D30030 04C30380
	v_max3_f32 v48, v130, v131, v48                            // 000000010104: D1D30030 04C30782
	v_max3_f32 v48, v132, v133, v48                            // 00000001010C: D1D30030 04C30B84
	v_max3_f32 v48, v134, v135, v48                            // 000000010114: D1D30030 04C30F86
	v_max3_f32 v48, v136, v137, v48                            // 00000001011C: D1D30030 04C31388
	v_max3_f32 v48, v138, v139, v48                            // 000000010124: D1D30030 04C3178A
	v_max3_f32 v48, v140, v141, v48                            // 00000001012C: D1D30030 04C31B8C
	v_max3_f32 v48, v142, v143, v48                            // 000000010134: D1D30030 04C31F8E
	ds_write_b32 v8, v48 offset:16896                          // 00000001013C: D81A4200 00003008
	v_mul_f32_e32 v216, v50, v216                              // 000000010144: 0BB1B132
	v_mul_f32_e32 v217, v50, v217                              // 000000010148: 0BB3B332
	v_mul_f32_e32 v218, v50, v218                              // 00000001014C: 0BB5B532
	v_mul_f32_e32 v219, v50, v219                              // 000000010150: 0BB7B732
	v_mul_f32_e32 v220, v50, v220                              // 000000010154: 0BB9B932
	v_mul_f32_e32 v221, v50, v221                              // 000000010158: 0BBBBB32
	v_mul_f32_e32 v222, v50, v222                              // 00000001015C: 0BBDBD32
	v_mul_f32_e32 v223, v50, v223                              // 000000010160: 0BBFBF32
	s_waitcnt lgkmcnt(0)                                       // 000000010164: BF8CC07F
	s_barrier                                                  // 000000010168: BF8A0000
	ds_read_b32 v64, v7 offset:16896                           // 00000001016C: D86C4200 40000007
	ds_read_b32 v65, v7 offset:16960                           // 000000010174: D86C4240 41000007
	ds_read_b32 v66, v7 offset:17024                           // 00000001017C: D86C4280 42000007
	ds_read_b32 v67, v7 offset:17088                           // 000000010184: D86C42C0 43000007
	ds_read_b32 v68, v7 offset:17152                           // 00000001018C: D86C4300 44000007
	ds_read_b32 v69, v7 offset:17216                           // 000000010194: D86C4340 45000007
	ds_read_b32 v70, v7 offset:17280                           // 00000001019C: D86C4380 46000007
	ds_read_b32 v71, v7 offset:17344                           // 0000000101A4: D86C43C0 47000007
	ds_read_b32 v72, v7 offset:17408                           // 0000000101AC: D86C4400 48000007
	ds_read_b32 v73, v7 offset:17472                           // 0000000101B4: D86C4440 49000007
	ds_read_b32 v74, v7 offset:17536                           // 0000000101BC: D86C4480 4A000007
	ds_read_b32 v75, v7 offset:17600                           // 0000000101C4: D86C44C0 4B000007
	ds_read_b32 v76, v7 offset:17664                           // 0000000101CC: D86C4500 4C000007
	ds_read_b32 v77, v7 offset:17728                           // 0000000101D4: D86C4540 4D000007
	ds_read_b32 v78, v7 offset:17792                           // 0000000101DC: D86C4580 4E000007
	ds_read_b32 v79, v7 offset:17856                           // 0000000101E4: D86C45C0 4F000007
	v_cvt_f32_i32_e32 v184, v184                               // 0000000101EC: 7F700BB8
	v_cvt_f32_i32_e32 v185, v185                               // 0000000101F0: 7F720BB9
	v_cvt_f32_i32_e32 v186, v186                               // 0000000101F4: 7F740BBA
	v_cvt_f32_i32_e32 v187, v187                               // 0000000101F8: 7F760BBB
	v_cvt_f32_i32_e32 v188, v188                               // 0000000101FC: 7F780BBC
	v_cvt_f32_i32_e32 v189, v189                               // 000000010200: 7F7A0BBD
	v_cvt_f32_i32_e32 v190, v190                               // 000000010204: 7F7C0BBE
	v_cvt_f32_i32_e32 v191, v191                               // 000000010208: 7F7E0BBF
	v_mul_f32_e32 v184, v45, v184                              // 00000001020C: 0B71712D
	v_mul_f32_e32 v185, v45, v185                              // 000000010210: 0B73732D
	v_mul_f32_e32 v186, v45, v186                              // 000000010214: 0B75752D
	v_mul_f32_e32 v187, v45, v187                              // 000000010218: 0B77772D
	v_mul_f32_e32 v188, v45, v188                              // 00000001021C: 0B79792D
	v_mul_f32_e32 v189, v45, v189                              // 000000010220: 0B7B7B2D
	v_mul_f32_e32 v190, v45, v190                              // 000000010224: 0B7D7D2D
	v_mul_f32_e32 v191, v45, v191                              // 000000010228: 0B7F7F2D
	s_waitcnt lgkmcnt(0)                                       // 00000001022C: BF8CC07F
	v_max3_f32 v48, v64, v65, v48                              // 000000010230: D1D30030 04C28340
	v_max3_f32 v48, v66, v67, v48                              // 000000010238: D1D30030 04C28742
	v_max3_f32 v48, v68, v69, v48                              // 000000010240: D1D30030 04C28B44
	v_max3_f32 v48, v70, v71, v48                              // 000000010248: D1D30030 04C28F46
	v_max3_f32 v48, v72, v73, v48                              // 000000010250: D1D30030 04C29348
	v_max3_f32 v48, v74, v75, v48                              // 000000010258: D1D30030 04C2974A
	v_max3_f32 v48, v76, v77, v48                              // 000000010260: D1D30030 04C29B4C
	v_max3_f32 v48, v78, v79, v48                              // 000000010268: D1D30030 04C29F4E
	v_mov_b32_e32 v64, 0xff800000                              // 000000010270: 7E8002FF FF800000
	v_cmp_eq_u32_e64 s[40:41], v64, v12                        // 000000010278: D0CA0028 00021940
	s_nop 1                                                    // 000000010280: BF800001
	v_max_f32_e32 v15, v48, v12                                // 000000010284: 161E1930
	v_mul_f32_e32 v53, s64, v15                                // 000000010288: 0A6A1E40
	v_fma_f32 v128, v128, s64, -v53                            // 00000001028C: D1CB0080 84D48180
	v_fma_f32 v129, v129, s64, -v53                            // 000000010294: D1CB0081 84D48181
	v_fma_f32 v130, v130, s64, -v53                            // 00000001029C: D1CB0082 84D48182
	v_fma_f32 v131, v131, s64, -v53                            // 0000000102A4: D1CB0083 84D48183
	v_fma_f32 v132, v132, s64, -v53                            // 0000000102AC: D1CB0084 84D48184
	v_fma_f32 v133, v133, s64, -v53                            // 0000000102B4: D1CB0085 84D48185
	v_fma_f32 v134, v134, s64, -v53                            // 0000000102BC: D1CB0086 84D48186
	v_fma_f32 v135, v135, s64, -v53                            // 0000000102C4: D1CB0087 84D48187
	v_fma_f32 v136, v136, s64, -v53                            // 0000000102CC: D1CB0088 84D48188
	v_fma_f32 v137, v137, s64, -v53                            // 0000000102D4: D1CB0089 84D48189
	v_fma_f32 v138, v138, s64, -v53                            // 0000000102DC: D1CB008A 84D4818A
	v_fma_f32 v139, v139, s64, -v53                            // 0000000102E4: D1CB008B 84D4818B
	v_fma_f32 v140, v140, s64, -v53                            // 0000000102EC: D1CB008C 84D4818C
	v_fma_f32 v141, v141, s64, -v53                            // 0000000102F4: D1CB008D 84D4818D
	v_fma_f32 v142, v142, s64, -v53                            // 0000000102FC: D1CB008E 84D4818E
	v_fma_f32 v143, v143, s64, -v53                            // 000000010304: D1CB008F 84D4818F
	v_exp_f32_e32 v128, v128                                   // 00000001030C: 7F004180
	v_exp_f32_e32 v129, v129                                   // 000000010310: 7F024181
	v_exp_f32_e32 v130, v130                                   // 000000010314: 7F044182
	v_exp_f32_e32 v131, v131                                   // 000000010318: 7F064183
	v_exp_f32_e32 v132, v132                                   // 00000001031C: 7F084184
	v_exp_f32_e32 v133, v133                                   // 000000010320: 7F0A4185
	v_exp_f32_e32 v134, v134                                   // 000000010324: 7F0C4186
	v_exp_f32_e32 v135, v135                                   // 000000010328: 7F0E4187
	v_exp_f32_e32 v136, v136                                   // 00000001032C: 7F104188
	v_exp_f32_e32 v137, v137                                   // 000000010330: 7F124189
	v_exp_f32_e32 v138, v138                                   // 000000010334: 7F14418A
	v_exp_f32_e32 v139, v139                                   // 000000010338: 7F16418B
	v_exp_f32_e32 v140, v140                                   // 00000001033C: 7F18418C
	v_exp_f32_e32 v141, v141                                   // 000000010340: 7F1A418D
	v_exp_f32_e32 v142, v142                                   // 000000010344: 7F1C418E
	v_exp_f32_e32 v143, v143                                   // 000000010348: 7F1E418F
	v_mul_f32_dpp v240, v252, v128 quad_perm:[0,0,0,0] row_mask:0xf bank_mask:0xf// 00000001034C: 0BE100FA FF0000FC
	v_mul_f32_dpp v241, v252, v129 quad_perm:[1,1,1,1] row_mask:0xf bank_mask:0xf// 000000010354: 0BE302FA FF0055FC
	v_mul_f32_dpp v242, v252, v130 quad_perm:[2,2,2,2] row_mask:0xf bank_mask:0xf// 00000001035C: 0BE504FA FF00AAFC
	v_mul_f32_dpp v243, v252, v131 quad_perm:[3,3,3,3] row_mask:0xf bank_mask:0xf// 000000010364: 0BE706FA FF00FFFC
	v_mul_f32_dpp v244, v253, v132 quad_perm:[0,0,0,0] row_mask:0xf bank_mask:0xf// 00000001036C: 0BE908FA FF0000FD
	v_mul_f32_dpp v245, v253, v133 quad_perm:[1,1,1,1] row_mask:0xf bank_mask:0xf// 000000010374: 0BEB0AFA FF0055FD
	v_mul_f32_dpp v246, v253, v134 quad_perm:[2,2,2,2] row_mask:0xf bank_mask:0xf// 00000001037C: 0BED0CFA FF00AAFD
	v_mul_f32_dpp v247, v253, v135 quad_perm:[3,3,3,3] row_mask:0xf bank_mask:0xf// 000000010384: 0BEF0EFA FF00FFFD
	v_mul_f32_dpp v248, v254, v136 quad_perm:[0,0,0,0] row_mask:0xf bank_mask:0xf// 00000001038C: 0BF110FA FF0000FE
	v_mul_f32_dpp v249, v254, v137 quad_perm:[1,1,1,1] row_mask:0xf bank_mask:0xf// 000000010394: 0BF312FA FF0055FE
	v_mul_f32_dpp v250, v254, v138 quad_perm:[2,2,2,2] row_mask:0xf bank_mask:0xf// 00000001039C: 0BF514FA FF00AAFE
	v_mul_f32_dpp v251, v254, v139 quad_perm:[3,3,3,3] row_mask:0xf bank_mask:0xf// 0000000103A4: 0BF716FA FF00FFFE
	v_mul_f32_dpp v252, v255, v140 quad_perm:[0,0,0,0] row_mask:0xf bank_mask:0xf// 0000000103AC: 0BF918FA FF0000FF
	v_mul_f32_dpp v253, v255, v141 quad_perm:[1,1,1,1] row_mask:0xf bank_mask:0xf// 0000000103B4: 0BFB1AFA FF0055FF
	v_mul_f32_dpp v254, v255, v142 quad_perm:[2,2,2,2] row_mask:0xf bank_mask:0xf// 0000000103BC: 0BFD1CFA FF00AAFF
	v_mul_f32_dpp v255, v255, v143 quad_perm:[3,3,3,3] row_mask:0xf bank_mask:0xf// 0000000103C4: 0BFF1EFA FF00FFFF
	v_mov_b32_e32 v48, 0x358637bd                              // 0000000103CC: 7E6002FF 358637BD
	v_max3_f32 v48, |v240|, |v241|, v48                        // 0000000103D4: D1D30330 04C3E3F0
	v_max3_f32 v48, |v242|, |v243|, v48                        // 0000000103DC: D1D30330 04C3E7F2
	v_max3_f32 v48, |v244|, |v245|, v48                        // 0000000103E4: D1D30330 04C3EBF4
	v_max3_f32 v48, |v246|, |v247|, v48                        // 0000000103EC: D1D30330 04C3EFF6
	v_max3_f32 v48, |v248|, |v249|, v48                        // 0000000103F4: D1D30330 04C3F3F8
	v_max3_f32 v48, |v250|, |v251|, v48                        // 0000000103FC: D1D30330 04C3F7FA
	v_max3_f32 v48, |v252|, |v253|, v48                        // 000000010404: D1D30330 04C3FBFC
	v_max3_f32 v48, |v254|, |v255|, v48                        // 00000001040C: D1D30330 04C3FFFE
	ds_write_b32 v8, v48 offset:20992                          // 000000010414: D81A5200 00003008
	v_sub_f32_e32 v50, v12, v15                                // 00000001041C: 04641F0C
	v_cndmask_b32_e64 v50, v50, 0, s[40:41]                    // 000000010420: D1000032 00A10132
	v_mov_b32_e32 v12, v15                                     // 000000010428: 7E18030F
	v_mul_f32_e32 v50, s64, v50                                // 00000001042C: 0A646440
	v_exp_f32_e32 v50, v50                                     // 000000010430: 7E644132
	s_waitcnt lgkmcnt(0)                                       // 000000010434: BF8CC07F
	s_barrier                                                  // 000000010438: BF8A0000
	ds_read_b32 v64, v7 offset:20992                           // 00000001043C: D86C5200 40000007
	ds_read_b32 v65, v7 offset:21056                           // 000000010444: D86C5240 41000007
	ds_read_b32 v66, v7 offset:21120                           // 00000001044C: D86C5280 42000007
	ds_read_b32 v67, v7 offset:21184                           // 000000010454: D86C52C0 43000007
	ds_read_b32 v68, v7 offset:21248                           // 00000001045C: D86C5300 44000007
	ds_read_b32 v69, v7 offset:21312                           // 000000010464: D86C5340 45000007
	ds_read_b32 v70, v7 offset:21376                           // 00000001046C: D86C5380 46000007
	ds_read_b32 v71, v7 offset:21440                           // 000000010474: D86C53C0 47000007
	ds_read_b32 v72, v7 offset:21504                           // 00000001047C: D86C5400 48000007
	ds_read_b32 v73, v7 offset:21568                           // 000000010484: D86C5440 49000007
	ds_read_b32 v74, v7 offset:21632                           // 00000001048C: D86C5480 4A000007
	ds_read_b32 v75, v7 offset:21696                           // 000000010494: D86C54C0 4B000007
	ds_read_b32 v76, v7 offset:21760                           // 00000001049C: D86C5500 4C000007
	ds_read_b32 v77, v7 offset:21824                           // 0000000104A4: D86C5540 4D000007
	ds_read_b32 v78, v7 offset:21888                           // 0000000104AC: D86C5580 4E000007
	ds_read_b32 v79, v7 offset:21952                           // 0000000104B4: D86C55C0 4F000007
	v_mul_f32_e32 v39, v50, v39                                // 0000000104BC: 0A4E4F32
	v_mov_b32_e32 v15, v128                                    // 0000000104C0: 7E1E0380
	v_add_f32_e32 v15, v129, v15                               // 0000000104C4: 021E1F81
	v_add_f32_e32 v15, v130, v15                               // 0000000104C8: 021E1F82
	v_add_f32_e32 v15, v131, v15                               // 0000000104CC: 021E1F83
	v_add_f32_e32 v15, v132, v15                               // 0000000104D0: 021E1F84
	v_add_f32_e32 v15, v133, v15                               // 0000000104D4: 021E1F85
	v_add_f32_e32 v15, v134, v15                               // 0000000104D8: 021E1F86
	v_add_f32_e32 v15, v135, v15                               // 0000000104DC: 021E1F87
	v_add_f32_e32 v15, v136, v15                               // 0000000104E0: 021E1F88
	v_add_f32_e32 v15, v137, v15                               // 0000000104E4: 021E1F89
	v_add_f32_e32 v15, v138, v15                               // 0000000104E8: 021E1F8A
	v_add_f32_e32 v15, v139, v15                               // 0000000104EC: 021E1F8B
	v_add_f32_e32 v15, v140, v15                               // 0000000104F0: 021E1F8C
	v_add_f32_e32 v15, v141, v15                               // 0000000104F4: 021E1F8D
	v_add_f32_e32 v15, v142, v15                               // 0000000104F8: 021E1F8E
	v_add_f32_e32 v15, v143, v15                               // 0000000104FC: 021E1F8F
	v_add_f32_e32 v39, v15, v39                                // 000000010500: 024E4F0F
	s_waitcnt lgkmcnt(0)                                       // 000000010504: BF8CC07F
	v_max3_f32 v48, |v64|, |v65|, v48                          // 000000010508: D1D30330 04C28340
	v_max3_f32 v48, |v66|, |v67|, v48                          // 000000010510: D1D30330 04C28742
	v_max3_f32 v48, |v68|, |v69|, v48                          // 000000010518: D1D30330 04C28B44
	v_max3_f32 v48, |v70|, |v71|, v48                          // 000000010520: D1D30330 04C28F46
	v_max3_f32 v48, |v72|, |v73|, v48                          // 000000010528: D1D30330 04C29348
	v_max3_f32 v48, |v74|, |v75|, v48                          // 000000010530: D1D30330 04C2974A
	v_max3_f32 v48, |v76|, |v77|, v48                          // 000000010538: D1D30330 04C29B4C
	v_max3_f32 v48, |v78|, |v79|, v48                          // 000000010540: D1D30330 04C29F4E
	s_nop 2                                                    // 000000010548: BF800002
	v_rcp_f32_e32 v48, v48                                     // 00000001054C: 7E604530
	s_nop 1                                                    // 000000010550: BF800001
	v_mul_f32_e32 v48, 0x42fe0000, v48                         // 000000010554: 0A6060FF 42FE0000
	v_mul_f32_e32 v128, v48, v240                              // 00000001055C: 0B01E130
	v_mul_f32_e32 v129, v48, v241                              // 000000010560: 0B03E330
	v_mul_f32_e32 v130, v48, v242                              // 000000010564: 0B05E530
	v_mul_f32_e32 v131, v48, v243                              // 000000010568: 0B07E730
	v_mul_f32_e32 v132, v48, v244                              // 00000001056C: 0B09E930
	v_mul_f32_e32 v133, v48, v245                              // 000000010570: 0B0BEB30
	v_mul_f32_e32 v134, v48, v246                              // 000000010574: 0B0DED30
	v_mul_f32_e32 v135, v48, v247                              // 000000010578: 0B0FEF30
	v_mul_f32_e32 v136, v48, v248                              // 00000001057C: 0B11F130
	v_mul_f32_e32 v137, v48, v249                              // 000000010580: 0B13F330
	v_mul_f32_e32 v138, v48, v250                              // 000000010584: 0B15F530
	v_mul_f32_e32 v139, v48, v251                              // 000000010588: 0B17F730
	v_mul_f32_e32 v140, v48, v252                              // 00000001058C: 0B19F930
	v_mul_f32_e32 v141, v48, v253                              // 000000010590: 0B1BFB30
	v_mul_f32_e32 v142, v48, v254                              // 000000010594: 0B1DFD30
	v_mul_f32_e32 v143, v48, v255                              // 000000010598: 0B1FFF30
	v_cvt_i32_f32_e32 v128, v128                               // 00000001059C: 7F001180
	v_cvt_i32_f32_e32 v129, v129                               // 0000000105A0: 7F021181
	v_cvt_i32_f32_e32 v130, v130                               // 0000000105A4: 7F041182
	v_cvt_i32_f32_e32 v131, v131                               // 0000000105A8: 7F061183
	v_cvt_i32_f32_e32 v132, v132                               // 0000000105AC: 7F081184
	v_cvt_i32_f32_e32 v133, v133                               // 0000000105B0: 7F0A1185
	v_cvt_i32_f32_e32 v134, v134                               // 0000000105B4: 7F0C1186
	v_cvt_i32_f32_e32 v135, v135                               // 0000000105B8: 7F0E1187
	v_cvt_i32_f32_e32 v136, v136                               // 0000000105BC: 7F101188
	v_cvt_i32_f32_e32 v137, v137                               // 0000000105C0: 7F121189
	v_cvt_i32_f32_e32 v138, v138                               // 0000000105C4: 7F14118A
	v_cvt_i32_f32_e32 v139, v139                               // 0000000105C8: 7F16118B
	v_cvt_i32_f32_e32 v140, v140                               // 0000000105CC: 7F18118C
	v_cvt_i32_f32_e32 v141, v141                               // 0000000105D0: 7F1A118D
	v_cvt_i32_f32_e32 v142, v142                               // 0000000105D4: 7F1C118E
	v_cvt_i32_f32_e32 v143, v143                               // 0000000105D8: 7F1E118F
	v_perm_b32 v128, v129, v128, s53                           // 0000000105DC: D1ED0080 00D70181
	v_perm_b32 v128, v130, v128, s54                           // 0000000105E4: D1ED0080 00DB0182
	v_perm_b32 v128, v131, v128, s55                           // 0000000105EC: D1ED0080 00DF0183
	v_perm_b32 v129, v133, v132, s53                           // 0000000105F4: D1ED0081 00D70985
	v_perm_b32 v129, v134, v129, s54                           // 0000000105FC: D1ED0081 00DB0386
	v_perm_b32 v129, v135, v129, s55                           // 000000010604: D1ED0081 00DF0387
	v_perm_b32 v130, v137, v136, s53                           // 00000001060C: D1ED0082 00D71189
	v_perm_b32 v130, v138, v130, s54                           // 000000010614: D1ED0082 00DB058A
	v_perm_b32 v130, v139, v130, s55                           // 00000001061C: D1ED0082 00DF058B
	v_perm_b32 v131, v141, v140, s53                           // 000000010624: D1ED0083 00D7198D
	v_perm_b32 v131, v142, v131, s54                           // 00000001062C: D1ED0083 00DB078E
	v_perm_b32 v131, v143, v131, s55                           // 000000010634: D1ED0083 00DF078F
	ds_write_b32 v10, v128 offset:29184                        // 00000001063C: D81A7200 0000800A
	ds_write_b32 v10, v129 offset:30208                        // 000000010644: D81A7600 0000810A
	ds_write_b32 v10, v130 offset:31232                        // 00000001064C: D81A7A00 0000820A
	ds_write_b32 v10, v131 offset:32256                        // 000000010654: D81A7E00 0000830A
	v_add_f32_e32 v216, v216, v184                             // 00000001065C: 03B171D8
	v_add_f32_e32 v217, v217, v185                             // 000000010660: 03B373D9
	v_add_f32_e32 v218, v218, v186                             // 000000010664: 03B575DA
	v_add_f32_e32 v219, v219, v187                             // 000000010668: 03B777DB
	v_add_f32_e32 v220, v220, v188                             // 00000001066C: 03B979DC
	v_add_f32_e32 v221, v221, v189                             // 000000010670: 03BB7BDD
	v_add_f32_e32 v222, v222, v190                             // 000000010674: 03BD7DDE
	v_add_f32_e32 v223, v223, v191                             // 000000010678: 03BF7FDF
	v_rcp_f32_e32 v45, v48                                     // 00000001067C: 7E5A4530
	s_waitcnt lgkmcnt(0)                                       // 000000010680: BF8CC07F
	s_barrier                                                  // 000000010684: BF8A0000
	ds_read_b64 v[128:129], v9 offset:29184                    // 000000010688: D8EC7200 80000009
	ds_read_b64 v[130:131], v9 offset:29312                    // 000000010690: D8EC7280 82000009
	ds_read_b64 v[132:133], v9 offset:30208                    // 000000010698: D8EC7600 84000009
	ds_read_b64 v[134:135], v9 offset:30336                    // 0000000106A0: D8EC7680 86000009
	ds_read_b64 v[136:137], v9 offset:31232                    // 0000000106A8: D8EC7A00 88000009
	ds_read_b64 v[138:139], v9 offset:31360                    // 0000000106B0: D8EC7A80 8A000009
	ds_read_b64 v[140:141], v9 offset:32256                    // 0000000106B8: D8EC7E00 8C000009
	ds_read_b64 v[142:143], v9 offset:32384                    // 0000000106C0: D8EC7E80 8E000009
	s_waitcnt vmcnt(0)                                         // 0000000106C8: BF8C0F70
	s_barrier                                                  // 0000000106CC: BF8A0000
	v_mfma_i32_16x16x32_i8 v[176:179], a[96:97], v[112:113], 0 // 0000000106D0: D3D700B0 0A02E160
	v_mfma_i32_16x16x32_i8 v[176:179], a[98:99], v[114:115], v[176:179]// 0000000106D8: D3D700B0 0EC2E562
	v_mfma_i32_16x16x32_i8 v[176:179], a[100:101], v[116:117], v[176:179]// 0000000106E0: D3D700B0 0EC2E964
	v_mfma_i32_16x16x32_i8 v[176:179], a[102:103], v[118:119], v[176:179]// 0000000106E8: D3D700B0 0EC2ED66
	v_mfma_i32_16x16x32_i8 v[176:179], a[104:105], v[120:121], v[176:179]// 0000000106F0: D3D700B0 0EC2F168
	v_mfma_i32_16x16x32_i8 v[176:179], a[106:107], v[122:123], v[176:179]// 0000000106F8: D3D700B0 0EC2F56A
	v_mfma_i32_16x16x32_i8 v[176:179], a[108:109], v[124:125], v[176:179]// 000000010700: D3D700B0 0EC2F96C
	v_mfma_i32_16x16x32_i8 v[176:179], a[110:111], v[126:127], v[176:179]// 000000010708: D3D700B0 0EC2FD6E
	v_mfma_i32_16x16x32_i8 v[180:183], a[112:113], v[112:113], 0// 000000010710: D3D700B4 0A02E170
	v_mfma_i32_16x16x32_i8 v[180:183], a[114:115], v[114:115], v[180:183]// 000000010718: D3D700B4 0ED2E572
	v_mfma_i32_16x16x32_i8 v[180:183], a[116:117], v[116:117], v[180:183]// 000000010720: D3D700B4 0ED2E974
	v_mfma_i32_16x16x32_i8 v[180:183], a[118:119], v[118:119], v[180:183]// 000000010728: D3D700B4 0ED2ED76
	v_mfma_i32_16x16x32_i8 v[180:183], a[120:121], v[120:121], v[180:183]// 000000010730: D3D700B4 0ED2F178
	v_mfma_i32_16x16x32_i8 v[180:183], a[122:123], v[122:123], v[180:183]// 000000010738: D3D700B4 0ED2F57A
	v_mfma_i32_16x16x32_i8 v[180:183], a[124:125], v[124:125], v[180:183]// 000000010740: D3D700B4 0ED2F97C
	v_mfma_i32_16x16x32_i8 v[180:183], a[126:127], v[126:127], v[180:183]// 000000010748: D3D700B4 0ED2FD7E
	v_mfma_i32_16x16x32_i8 v[184:187], a[96:97], v[128:129], 0 // 000000010750: D3D700B8 0A030160
	v_mfma_i32_16x16x32_i8 v[184:187], a[98:99], v[130:131], v[184:187]// 000000010758: D3D700B8 0EE30562
	v_mfma_i32_16x16x32_i8 v[184:187], a[100:101], v[132:133], v[184:187]// 000000010760: D3D700B8 0EE30964
	v_mfma_i32_16x16x32_i8 v[184:187], a[102:103], v[134:135], v[184:187]// 000000010768: D3D700B8 0EE30D66
	v_mfma_i32_16x16x32_i8 v[184:187], a[104:105], v[136:137], v[184:187]// 000000010770: D3D700B8 0EE31168
	v_mfma_i32_16x16x32_i8 v[184:187], a[106:107], v[138:139], v[184:187]// 000000010778: D3D700B8 0EE3156A
	v_mfma_i32_16x16x32_i8 v[184:187], a[108:109], v[140:141], v[184:187]// 000000010780: D3D700B8 0EE3196C
	v_mfma_i32_16x16x32_i8 v[184:187], a[110:111], v[142:143], v[184:187]// 000000010788: D3D700B8 0EE31D6E
	v_mfma_i32_16x16x32_i8 v[188:191], a[112:113], v[128:129], 0// 000000010790: D3D700BC 0A030170
	v_mfma_i32_16x16x32_i8 v[188:191], a[114:115], v[130:131], v[188:191]// 000000010798: D3D700BC 0EF30572
	v_mfma_i32_16x16x32_i8 v[188:191], a[116:117], v[132:133], v[188:191]// 0000000107A0: D3D700BC 0EF30974
	v_mfma_i32_16x16x32_i8 v[188:191], a[118:119], v[134:135], v[188:191]// 0000000107A8: D3D700BC 0EF30D76
	v_mfma_i32_16x16x32_i8 v[188:191], a[120:121], v[136:137], v[188:191]// 0000000107B0: D3D700BC 0EF31178
	v_mfma_i32_16x16x32_i8 v[188:191], a[122:123], v[138:139], v[188:191]// 0000000107B8: D3D700BC 0EF3157A
	v_mfma_i32_16x16x32_i8 v[188:191], a[124:125], v[140:141], v[188:191]// 0000000107C0: D3D700BC 0EF3197C
	v_mfma_i32_16x16x32_i8 v[188:191], a[126:127], v[142:143], v[188:191]// 0000000107C8: D3D700BC 0EF31D7E
	s_nop 4                                                    // 0000000107D0: BF800004
	s_branch label_3976                                        // 0000000107D4: BF820000

00000000000107d8 <label_3976>:
	v_mul_f32_e32 v208, v49, v208                              // 0000000107D8: 0BA1A131
	v_mul_f32_e32 v209, v49, v209                              // 0000000107DC: 0BA3A331
	v_mul_f32_e32 v210, v49, v210                              // 0000000107E0: 0BA5A531
	v_mul_f32_e32 v211, v49, v211                              // 0000000107E4: 0BA7A731
	v_mul_f32_e32 v212, v49, v212                              // 0000000107E8: 0BA9A931
	v_mul_f32_e32 v213, v49, v213                              // 0000000107EC: 0BABAB31
	v_mul_f32_e32 v214, v49, v214                              // 0000000107F0: 0BADAD31
	v_mul_f32_e32 v215, v49, v215                              // 0000000107F4: 0BAFAF31
	v_cvt_f32_i32_e32 v176, v176                               // 0000000107F8: 7F600BB0
	v_cvt_f32_i32_e32 v177, v177                               // 0000000107FC: 7F620BB1
	v_cvt_f32_i32_e32 v178, v178                               // 000000010800: 7F640BB2
	v_cvt_f32_i32_e32 v179, v179                               // 000000010804: 7F660BB3
	v_cvt_f32_i32_e32 v180, v180                               // 000000010808: 7F680BB4
	v_cvt_f32_i32_e32 v181, v181                               // 00000001080C: 7F6A0BB5
	v_cvt_f32_i32_e32 v182, v182                               // 000000010810: 7F6C0BB6
	v_cvt_f32_i32_e32 v183, v183                               // 000000010814: 7F6E0BB7
	v_mul_f32_e32 v176, v44, v176                              // 000000010818: 0B61612C
	v_mul_f32_e32 v177, v44, v177                              // 00000001081C: 0B63632C
	v_mul_f32_e32 v178, v44, v178                              // 000000010820: 0B65652C
	v_mul_f32_e32 v179, v44, v179                              // 000000010824: 0B67672C
	v_mul_f32_e32 v180, v44, v180                              // 000000010828: 0B69692C
	v_mul_f32_e32 v181, v44, v181                              // 00000001082C: 0B6B6B2C
	v_mul_f32_e32 v182, v44, v182                              // 000000010830: 0B6D6D2C
	v_mul_f32_e32 v183, v44, v183                              // 000000010834: 0B6F6F2C
	v_add_f32_e32 v208, v208, v176                             // 000000010838: 03A161D0
	v_add_f32_e32 v209, v209, v177                             // 00000001083C: 03A363D1
	v_add_f32_e32 v210, v210, v178                             // 000000010840: 03A565D2
	v_add_f32_e32 v211, v211, v179                             // 000000010844: 03A767D3
	v_add_f32_e32 v212, v212, v180                             // 000000010848: 03A969D4
	v_add_f32_e32 v213, v213, v181                             // 00000001084C: 03AB6BD5
	v_add_f32_e32 v214, v214, v182                             // 000000010850: 03AD6DD6
	v_add_f32_e32 v215, v215, v183                             // 000000010854: 03AF6FD7
	ds_write_b32 v8, v38 offset:16896                          // 000000010858: D81A4200 00002608
	s_waitcnt lgkmcnt(0)                                       // 000000010860: BF8CC07F
	s_barrier                                                  // 000000010864: BF8A0000
	ds_read_b32 v64, v7 offset:16896                           // 000000010868: D86C4200 40000007
	ds_read_b32 v65, v7 offset:16960                           // 000000010870: D86C4240 41000007
	ds_read_b32 v66, v7 offset:17024                           // 000000010878: D86C4280 42000007
	ds_read_b32 v67, v7 offset:17088                           // 000000010880: D86C42C0 43000007
	ds_read_b32 v68, v7 offset:17152                           // 000000010888: D86C4300 44000007
	ds_read_b32 v69, v7 offset:17216                           // 000000010890: D86C4340 45000007
	ds_read_b32 v70, v7 offset:17280                           // 000000010898: D86C4380 46000007
	ds_read_b32 v71, v7 offset:17344                           // 0000000108A0: D86C43C0 47000007
	ds_read_b32 v72, v7 offset:17408                           // 0000000108A8: D86C4400 48000007
	ds_read_b32 v73, v7 offset:17472                           // 0000000108B0: D86C4440 49000007
	ds_read_b32 v74, v7 offset:17536                           // 0000000108B8: D86C4480 4A000007
	ds_read_b32 v75, v7 offset:17600                           // 0000000108C0: D86C44C0 4B000007
	ds_read_b32 v76, v7 offset:17664                           // 0000000108C8: D86C4500 4C000007
	ds_read_b32 v77, v7 offset:17728                           // 0000000108D0: D86C4540 4D000007
	ds_read_b32 v78, v7 offset:17792                           // 0000000108D8: D86C4580 4E000007
	ds_read_b32 v79, v7 offset:17856                           // 0000000108E0: D86C45C0 4F000007
	s_waitcnt lgkmcnt(0)                                       // 0000000108E8: BF8CC07F
	v_mov_b32_e32 v38, 0                                       // 0000000108EC: 7E4C0280
	v_add_f32_e32 v38, v64, v38                                // 0000000108F0: 024C4D40
	v_add_f32_e32 v38, v65, v38                                // 0000000108F4: 024C4D41
	v_add_f32_e32 v38, v66, v38                                // 0000000108F8: 024C4D42
	v_add_f32_e32 v38, v67, v38                                // 0000000108FC: 024C4D43
	v_add_f32_e32 v38, v68, v38                                // 000000010900: 024C4D44
	v_add_f32_e32 v38, v69, v38                                // 000000010904: 024C4D45
	v_add_f32_e32 v38, v70, v38                                // 000000010908: 024C4D46
	v_add_f32_e32 v38, v71, v38                                // 00000001090C: 024C4D47
	v_add_f32_e32 v38, v72, v38                                // 000000010910: 024C4D48
	v_add_f32_e32 v38, v73, v38                                // 000000010914: 024C4D49
	v_add_f32_e32 v38, v74, v38                                // 000000010918: 024C4D4A
	v_add_f32_e32 v38, v75, v38                                // 00000001091C: 024C4D4B
	v_add_f32_e32 v38, v76, v38                                // 000000010920: 024C4D4C
	v_add_f32_e32 v38, v77, v38                                // 000000010924: 024C4D4D
	v_add_f32_e32 v38, v78, v38                                // 000000010928: 024C4D4E
	v_add_f32_e32 v38, v79, v38                                // 00000001092C: 024C4D4F
	s_nop 1                                                    // 000000010930: BF800001
	v_rcp_f32_e32 v38, v38                                     // 000000010934: 7E4C4526
	s_nop 1                                                    // 000000010938: BF800001
	v_mul_f32_e32 v208, v38, v208                              // 00000001093C: 0BA1A126
	v_mul_f32_e32 v209, v38, v209                              // 000000010940: 0BA3A326
	v_mul_f32_e32 v210, v38, v210                              // 000000010944: 0BA5A526
	v_mul_f32_e32 v211, v38, v211                              // 000000010948: 0BA7A726
	v_mul_f32_e32 v212, v38, v212                              // 00000001094C: 0BA9A926
	v_mul_f32_e32 v213, v38, v213                              // 000000010950: 0BABAB26
	v_mul_f32_e32 v214, v38, v214                              // 000000010954: 0BADAD26
	v_mul_f32_e32 v215, v38, v215                              // 000000010958: 0BAFAF26
	v_mov_b32_e32 v19, 0xffff0000                              // 00000001095C: 7E2602FF FFFF0000
	v_mov_b32_e32 v20, 0x7fff0000                              // 000000010964: 7E2802FF 7FFF0000
	v_mov_b32_e32 v21, 0x7fff                                  // 00000001096C: 7E2A02FF 00007FFF
	v_cvt_pkrtz_f16_f32 v64, v208, v209                        // 000000010974: D2960040 0003A3D0
	v_mov_b32_e32 v208, v64                                    // 00000001097C: 7FA00340
	v_cvt_pkrtz_f16_f32 v64, v210, v211                        // 000000010980: D2960040 0003A7D2
	v_mov_b32_e32 v209, v64                                    // 000000010988: 7FA20340
	v_cvt_pkrtz_f16_f32 v64, v212, v213                        // 00000001098C: D2960040 0003ABD4
	v_mov_b32_e32 v210, v64                                    // 000000010994: 7FA40340
	v_cvt_pkrtz_f16_f32 v64, v214, v215                        // 000000010998: D2960040 0003AFD6
	v_mov_b32_e32 v211, v64                                    // 0000000109A0: 7FA60340
	s_nop 1                                                    // 0000000109A4: BF800001
	v_lshrrev_b32_e32 v64, 4, v0                               // 0000000109A8: 20800084
	v_mul_i32_i24_e32 v68, 34, v64                             // 0000000109AC: 0C8880A2
	v_and_b32_e32 v64, 15, v0                                  // 0000000109B0: 2680008F
	v_mul_i32_i24_e32 v65, 2, v64                              // 0000000109B4: 0C828082
	v_add_u32_e32 v68, v65, v68                                // 0000000109B8: 68888941
	s_mul_i32 s60, s7, 0x88                                    // 0000000109BC: 923CFF07 00000088
	v_add_u32_e32 v68, s60, v68                                // 0000000109C4: 6888883C
	v_lshlrev_b32_e32 v68, 2, v68                              // 0000000109C8: 24888882
	ds_write_b64 v68, v[208:209] offset:41472                  // 0000000109CC: D89AA200 0000D044
	ds_write_b64 v68, v[210:211] offset:43648                  // 0000000109D4: D89AAA80 0000D244
	v_lshrrev_b32_e32 v64, 1, v0                               // 0000000109DC: 20800081
	v_mul_i32_i24_e32 v68, 34, v64                             // 0000000109E0: 0C8880A2
	v_and_b32_e32 v65, 1, v0                                   // 0000000109E4: 26820081
	v_add_u32_e32 v68, v65, v68                                // 0000000109E8: 68888941
	s_mul_i32 s60, s7, 2                                       // 0000000109EC: 923C8207
	v_add_u32_e32 v68, s60, v68                                // 0000000109F0: 6888883C
	v_lshlrev_b32_e32 v68, 2, v68                              // 0000000109F4: 24888882
	s_waitcnt lgkmcnt(0)                                       // 0000000109F8: BF8CC07F
	s_barrier                                                  // 0000000109FC: BF8A0000
	ds_read_b32 v208, v68 offset:41472                         // 000000010A00: D86CA200 D0000044
	ds_read_b32 v209, v68 offset:41504                         // 000000010A08: D86CA220 D1000044
	ds_read_b32 v210, v68 offset:41536                         // 000000010A10: D86CA240 D2000044
	ds_read_b32 v211, v68 offset:41568                         // 000000010A18: D86CA260 D3000044
	s_mul_i32 s60, s7, 0x100                                   // 000000010A20: 923CFF07 00000100
	v_lshlrev_b32_e32 v64, 2, v0                               // 000000010A28: 24800082
	v_add_u32_e64 v64, v64, s60                                // 000000010A2C: D1340040 00007940
	s_waitcnt lgkmcnt(0)                                       // 000000010A34: BF8CC07F
	buffer_store_dword v208, v64, s[8:11], 0 offen             // 000000010A38: E0701000 8002D040
	buffer_store_dword v209, v64, s[8:11], 0 offen offset:1024 // 000000010A40: E0701400 8002D140
	buffer_store_dword v210, v64, s[8:11], 0 offen offset:2048 // 000000010A48: E0701800 8002D240
	buffer_store_dword v211, v64, s[8:11], 0 offen offset:3072 // 000000010A50: E0701C00 8002D340
	s_add_u32 s8, s75, s8                                      // 000000010A58: 8008084B
	s_addc_u32 s9, 0, s9                                       // 000000010A5C: 82090980
	v_mul_f32_e32 v216, v50, v216                              // 000000010A60: 0BB1B132
	v_mul_f32_e32 v217, v50, v217                              // 000000010A64: 0BB3B332
	v_mul_f32_e32 v218, v50, v218                              // 000000010A68: 0BB5B532
	v_mul_f32_e32 v219, v50, v219                              // 000000010A6C: 0BB7B732
	v_mul_f32_e32 v220, v50, v220                              // 000000010A70: 0BB9B932
	v_mul_f32_e32 v221, v50, v221                              // 000000010A74: 0BBBBB32
	v_mul_f32_e32 v222, v50, v222                              // 000000010A78: 0BBDBD32
	v_mul_f32_e32 v223, v50, v223                              // 000000010A7C: 0BBFBF32
	v_cvt_f32_i32_e32 v184, v184                               // 000000010A80: 7F700BB8
	v_cvt_f32_i32_e32 v185, v185                               // 000000010A84: 7F720BB9
	v_cvt_f32_i32_e32 v186, v186                               // 000000010A88: 7F740BBA
	v_cvt_f32_i32_e32 v187, v187                               // 000000010A8C: 7F760BBB
	v_cvt_f32_i32_e32 v188, v188                               // 000000010A90: 7F780BBC
	v_cvt_f32_i32_e32 v189, v189                               // 000000010A94: 7F7A0BBD
	v_cvt_f32_i32_e32 v190, v190                               // 000000010A98: 7F7C0BBE
	v_cvt_f32_i32_e32 v191, v191                               // 000000010A9C: 7F7E0BBF
	v_mul_f32_e32 v184, v45, v184                              // 000000010AA0: 0B71712D
	v_mul_f32_e32 v185, v45, v185                              // 000000010AA4: 0B73732D
	v_mul_f32_e32 v186, v45, v186                              // 000000010AA8: 0B75752D
	v_mul_f32_e32 v187, v45, v187                              // 000000010AAC: 0B77772D
	v_mul_f32_e32 v188, v45, v188                              // 000000010AB0: 0B79792D
	v_mul_f32_e32 v189, v45, v189                              // 000000010AB4: 0B7B7B2D
	v_mul_f32_e32 v190, v45, v190                              // 000000010AB8: 0B7D7D2D
	v_mul_f32_e32 v191, v45, v191                              // 000000010ABC: 0B7F7F2D
	v_add_f32_e32 v216, v216, v184                             // 000000010AC0: 03B171D8
	v_add_f32_e32 v217, v217, v185                             // 000000010AC4: 03B373D9
	v_add_f32_e32 v218, v218, v186                             // 000000010AC8: 03B575DA
	v_add_f32_e32 v219, v219, v187                             // 000000010ACC: 03B777DB
	v_add_f32_e32 v220, v220, v188                             // 000000010AD0: 03B979DC
	v_add_f32_e32 v221, v221, v189                             // 000000010AD4: 03BB7BDD
	v_add_f32_e32 v222, v222, v190                             // 000000010AD8: 03BD7DDE
	v_add_f32_e32 v223, v223, v191                             // 000000010ADC: 03BF7FDF
	ds_write_b32 v8, v39 offset:16896                          // 000000010AE0: D81A4200 00002708
	s_waitcnt lgkmcnt(0)                                       // 000000010AE8: BF8CC07F
	s_barrier                                                  // 000000010AEC: BF8A0000
	ds_read_b32 v64, v7 offset:16896                           // 000000010AF0: D86C4200 40000007
	ds_read_b32 v65, v7 offset:16960                           // 000000010AF8: D86C4240 41000007
	ds_read_b32 v66, v7 offset:17024                           // 000000010B00: D86C4280 42000007
	ds_read_b32 v67, v7 offset:17088                           // 000000010B08: D86C42C0 43000007
	ds_read_b32 v68, v7 offset:17152                           // 000000010B10: D86C4300 44000007
	ds_read_b32 v69, v7 offset:17216                           // 000000010B18: D86C4340 45000007
	ds_read_b32 v70, v7 offset:17280                           // 000000010B20: D86C4380 46000007
	ds_read_b32 v71, v7 offset:17344                           // 000000010B28: D86C43C0 47000007
	ds_read_b32 v72, v7 offset:17408                           // 000000010B30: D86C4400 48000007
	ds_read_b32 v73, v7 offset:17472                           // 000000010B38: D86C4440 49000007
	ds_read_b32 v74, v7 offset:17536                           // 000000010B40: D86C4480 4A000007
	ds_read_b32 v75, v7 offset:17600                           // 000000010B48: D86C44C0 4B000007
	ds_read_b32 v76, v7 offset:17664                           // 000000010B50: D86C4500 4C000007
	ds_read_b32 v77, v7 offset:17728                           // 000000010B58: D86C4540 4D000007
	ds_read_b32 v78, v7 offset:17792                           // 000000010B60: D86C4580 4E000007
	ds_read_b32 v79, v7 offset:17856                           // 000000010B68: D86C45C0 4F000007
	s_waitcnt lgkmcnt(0)                                       // 000000010B70: BF8CC07F
	v_mov_b32_e32 v39, 0                                       // 000000010B74: 7E4E0280
	v_add_f32_e32 v39, v64, v39                                // 000000010B78: 024E4F40
	v_add_f32_e32 v39, v65, v39                                // 000000010B7C: 024E4F41
	v_add_f32_e32 v39, v66, v39                                // 000000010B80: 024E4F42
	v_add_f32_e32 v39, v67, v39                                // 000000010B84: 024E4F43
	v_add_f32_e32 v39, v68, v39                                // 000000010B88: 024E4F44
	v_add_f32_e32 v39, v69, v39                                // 000000010B8C: 024E4F45
	v_add_f32_e32 v39, v70, v39                                // 000000010B90: 024E4F46
	v_add_f32_e32 v39, v71, v39                                // 000000010B94: 024E4F47
	v_add_f32_e32 v39, v72, v39                                // 000000010B98: 024E4F48
	v_add_f32_e32 v39, v73, v39                                // 000000010B9C: 024E4F49
	v_add_f32_e32 v39, v74, v39                                // 000000010BA0: 024E4F4A
	v_add_f32_e32 v39, v75, v39                                // 000000010BA4: 024E4F4B
	v_add_f32_e32 v39, v76, v39                                // 000000010BA8: 024E4F4C
	v_add_f32_e32 v39, v77, v39                                // 000000010BAC: 024E4F4D
	v_add_f32_e32 v39, v78, v39                                // 000000010BB0: 024E4F4E
	v_add_f32_e32 v39, v79, v39                                // 000000010BB4: 024E4F4F
	s_nop 1                                                    // 000000010BB8: BF800001
	v_rcp_f32_e32 v39, v39                                     // 000000010BBC: 7E4E4527
	s_nop 1                                                    // 000000010BC0: BF800001
	v_mul_f32_e32 v216, v39, v216                              // 000000010BC4: 0BB1B127
	v_mul_f32_e32 v217, v39, v217                              // 000000010BC8: 0BB3B327
	v_mul_f32_e32 v218, v39, v218                              // 000000010BCC: 0BB5B527
	v_mul_f32_e32 v219, v39, v219                              // 000000010BD0: 0BB7B727
	v_mul_f32_e32 v220, v39, v220                              // 000000010BD4: 0BB9B927
	v_mul_f32_e32 v221, v39, v221                              // 000000010BD8: 0BBBBB27
	v_mul_f32_e32 v222, v39, v222                              // 000000010BDC: 0BBDBD27
	v_mul_f32_e32 v223, v39, v223                              // 000000010BE0: 0BBFBF27
	v_mov_b32_e32 v19, 0xffff0000                              // 000000010BE4: 7E2602FF FFFF0000
	v_mov_b32_e32 v20, 0x7fff0000                              // 000000010BEC: 7E2802FF 7FFF0000
	v_mov_b32_e32 v21, 0x7fff                                  // 000000010BF4: 7E2A02FF 00007FFF
	v_cvt_pkrtz_f16_f32 v64, v216, v217                        // 000000010BFC: D2960040 0003B3D8
	v_mov_b32_e32 v216, v64                                    // 000000010C04: 7FB00340
	v_cvt_pkrtz_f16_f32 v64, v218, v219                        // 000000010C08: D2960040 0003B7DA
	v_mov_b32_e32 v217, v64                                    // 000000010C10: 7FB20340
	v_cvt_pkrtz_f16_f32 v64, v220, v221                        // 000000010C14: D2960040 0003BBDC
	v_mov_b32_e32 v218, v64                                    // 000000010C1C: 7FB40340
	v_cvt_pkrtz_f16_f32 v64, v222, v223                        // 000000010C20: D2960040 0003BFDE
	v_mov_b32_e32 v219, v64                                    // 000000010C28: 7FB60340
	s_nop 1                                                    // 000000010C2C: BF800001
	v_lshrrev_b32_e32 v64, 4, v0                               // 000000010C30: 20800084
	v_mul_i32_i24_e32 v68, 34, v64                             // 000000010C34: 0C8880A2
	v_and_b32_e32 v64, 15, v0                                  // 000000010C38: 2680008F
	v_mul_i32_i24_e32 v65, 2, v64                              // 000000010C3C: 0C828082
	v_add_u32_e32 v68, v65, v68                                // 000000010C40: 68888941
	s_mul_i32 s60, s7, 0x88                                    // 000000010C44: 923CFF07 00000088
	v_add_u32_e32 v68, s60, v68                                // 000000010C4C: 6888883C
	v_lshlrev_b32_e32 v68, 2, v68                              // 000000010C50: 24888882
	ds_write_b64 v68, v[216:217] offset:41472                  // 000000010C54: D89AA200 0000D844
	ds_write_b64 v68, v[218:219] offset:43648                  // 000000010C5C: D89AAA80 0000DA44
	v_lshrrev_b32_e32 v64, 1, v0                               // 000000010C64: 20800081
	v_mul_i32_i24_e32 v68, 34, v64                             // 000000010C68: 0C8880A2
	v_and_b32_e32 v65, 1, v0                                   // 000000010C6C: 26820081
	v_add_u32_e32 v68, v65, v68                                // 000000010C70: 68888941
	s_mul_i32 s60, s7, 2                                       // 000000010C74: 923C8207
	v_add_u32_e32 v68, s60, v68                                // 000000010C78: 6888883C
	v_lshlrev_b32_e32 v68, 2, v68                              // 000000010C7C: 24888882
	s_waitcnt lgkmcnt(0)                                       // 000000010C80: BF8CC07F
	s_barrier                                                  // 000000010C84: BF8A0000
	ds_read_b32 v216, v68 offset:41472                         // 000000010C88: D86CA200 D8000044
	ds_read_b32 v217, v68 offset:41504                         // 000000010C90: D86CA220 D9000044
	ds_read_b32 v218, v68 offset:41536                         // 000000010C98: D86CA240 DA000044
	ds_read_b32 v219, v68 offset:41568                         // 000000010CA0: D86CA260 DB000044
	s_mul_i32 s60, s7, 0x100                                   // 000000010CA8: 923CFF07 00000100
	v_lshlrev_b32_e32 v64, 2, v0                               // 000000010CB0: 24800082
	v_add_u32_e64 v64, v64, s60                                // 000000010CB4: D1340040 00007940
	s_waitcnt lgkmcnt(0)                                       // 000000010CBC: BF8CC07F
	buffer_store_dword v216, v64, s[8:11], 0 offen             // 000000010CC0: E0701000 8002D840
	buffer_store_dword v217, v64, s[8:11], 0 offen offset:1024 // 000000010CC8: E0701400 8002D940
	buffer_store_dword v218, v64, s[8:11], 0 offen offset:2048 // 000000010CD0: E0701800 8002DA40
	buffer_store_dword v219, v64, s[8:11], 0 offen offset:3072 // 000000010CD8: E0701C00 8002DB40
	s_add_u32 s8, s75, s8                                      // 000000010CE0: 8008084B
	s_addc_u32 s9, 0, s9                                       // 000000010CE4: 82090980

0000000000010ce8 <label_3ABA>:
	s_branch label_7270                                        // 000000010CE8: BF8237B5

0000000000010cec <label_3ABB>:
	s_mul_i32 s60, s3, s65                                     // 000000010CEC: 923C4103
	s_mul_i32 s60, s60, 4                                      // 000000010CF0: 923C843C
	s_add_u32 s24, s60, s24                                    // 000000010CF4: 8018183C
	s_addc_u32 s25, 0, s25                                     // 000000010CF8: 82191980
	s_mov_b32 s56, 64                                          // 000000010CFC: BEB800C0
	s_add_u32 s73, s72, 15                                     // 000000010D00: 80498F48
	s_lshr_b32 s73, s73, 4                                     // 000000010D04: 8F498449
	s_mul_i32 s60, s73, 4                                      // 000000010D08: 923C8449
	s_mov_b32 s26, s60                                         // 000000010D0C: BE9A003C
	s_sub_u32 s89, s72, s86                                    // 000000010D10: 80D95648
	s_mov_b32 s90, 0xff                                        // 000000010D14: BEDA00FF 000000FF
	s_mov_b32 s91, 0x100                                       // 000000010D1C: BEDB00FF 00000100
	v_and_b32_e32 v65, 3, v0                                   // 000000010D24: 26820083
	v_cmp_eq_u32_e64 s[60:61], 0, v65                          // 000000010D28: D0CA003C 00028280
	v_and_b32_e32 v64, 12, v0                                  // 000000010D30: 2680008C
	v_add_u32_e32 v1, s7, v64                                  // 000000010D34: 68028007
	v_cndmask_b32_e64 v1, 0, v1, s[60:61]                      // 000000010D38: D1000001 00F20280
	v_and_b32_e32 v65, 3, v0                                   // 000000010D40: 26820083
	v_cmp_eq_u32_e64 s[60:61], 1, v65                          // 000000010D44: D0CA003C 00028281
	v_lshrrev_b32_e32 v64, 4, v0                               // 000000010D4C: 20800084
	v_and_b32_e32 v65, 12, v0                                  // 000000010D50: 2682008C
	v_add_u32_e32 v64, v65, v64                                // 000000010D54: 68808141
	v_cndmask_b32_e64 v64, 0, v64, s[60:61]                    // 000000010D58: D1000040 00F28080
	v_add_u32_e32 v1, v1, v64                                  // 000000010D60: 68028101
	v_lshlrev_b32_e32 v1, 2, v1                                // 000000010D64: 24020282
	buffer_load_dword v16, v1, s[24:27], 0 offen               // 000000010D68: E0501000 80061001
	v_add_u32_e32 v1, s56, v1                                  // 000000010D70: 68020238
	buffer_load_dword v17, v1, s[24:27], 0 offen               // 000000010D74: E0501000 80061101
	s_cmp_le_u32 s73, 32                                       // 000000010D7C: BF0BA049
	s_cselect_b32 s56, 0, s56                                  // 000000010D80: 85383880
	s_mul_i32 s60, s2, s67                                     // 000000010D84: 923C4302
	s_mul_i32 s61, s84, s74                                    // 000000010D88: 923D4A54
	s_add_u32 s60, s60, s61                                    // 000000010D8C: 803C3D3C
	s_add_u32 s12, s60, s12                                    // 000000010D90: 800C0C3C
	s_addc_u32 s13, 0, s13                                     // 000000010D94: 820D0D80
	s_mul_i32 s60, s7, 0x108                                   // 000000010D98: 923CFF07 00000108
	s_add_u32 m0, 0, s60                                       // 000000010DA0: 807C3C80
	s_mul_i32 s60, s7, 0x100                                   // 000000010DA4: 923CFF07 00000100
	v_lshlrev_b32_e32 v64, 2, v0                               // 000000010DAC: 24800082
	v_add_u32_e64 v64, v64, s60                                // 000000010DB0: D1340040 00007940
	v_add_u32_e32 v65, 0x400, v64                              // 000000010DB8: 688280FF 00000400
	v_add_u32_e32 v66, 0x800, v64                              // 000000010DC0: 688480FF 00000800
	v_add_u32_e32 v67, 0xc00, v64                              // 000000010DC8: 688680FF 00000C00
	buffer_load_dword v64, s[12:15], 0 offen lds               // 000000010DD0: E0511000 80030040
	s_mul_i32 s60, 4, 0x108                                    // 000000010DD8: 923CFF84 00000108
	s_add_u32 m0, m0, s60                                      // 000000010DE0: 807C3C7C
	buffer_load_dword v65, s[12:15], 0 offen lds               // 000000010DE4: E0511000 80030041
	s_mul_i32 s60, 4, 0x108                                    // 000000010DEC: 923CFF84 00000108
	s_add_u32 m0, m0, s60                                      // 000000010DF4: 807C3C7C
	buffer_load_dword v66, s[12:15], 0 offen lds               // 000000010DF8: E0511000 80030042
	s_mul_i32 s60, 4, 0x108                                    // 000000010E00: 923CFF84 00000108
	s_add_u32 m0, m0, s60                                      // 000000010E08: 807C3C7C
	buffer_load_dword v67, s[12:15], 0 offen lds               // 000000010E0C: E0511000 80030043
	s_mul_i32 s60, 4, 0x108                                    // 000000010E14: 923CFF84 00000108
	s_add_u32 m0, m0, s60                                      // 000000010E1C: 807C3C7C
	s_add_u32 s12, s74, s12                                    // 000000010E20: 800C0C4A
	s_addc_u32 s13, 0, s13                                     // 000000010E24: 820D0D80
	buffer_load_dword v64, s[12:15], 0 offen lds               // 000000010E28: E0511000 80030040
	s_mul_i32 s60, 4, 0x108                                    // 000000010E30: 923CFF84 00000108
	s_add_u32 m0, m0, s60                                      // 000000010E38: 807C3C7C
	buffer_load_dword v65, s[12:15], 0 offen lds               // 000000010E3C: E0511000 80030041
	s_mul_i32 s60, 4, 0x108                                    // 000000010E44: 923CFF84 00000108
	s_add_u32 m0, m0, s60                                      // 000000010E4C: 807C3C7C
	buffer_load_dword v66, s[12:15], 0 offen lds               // 000000010E50: E0511000 80030042
	s_mul_i32 s60, 4, 0x108                                    // 000000010E58: 923CFF84 00000108
	s_add_u32 m0, m0, s60                                      // 000000010E60: 807C3C7C
	buffer_load_dword v67, s[12:15], 0 offen lds               // 000000010E64: E0511000 80030043
	s_mul_i32 s60, 4, 0x108                                    // 000000010E6C: 923CFF84 00000108
	s_add_u32 m0, m0, s60                                      // 000000010E74: 807C3C7C
	s_add_u32 s12, s74, s12                                    // 000000010E78: 800C0C4A
	s_addc_u32 s13, 0, s13                                     // 000000010E7C: 820D0D80
	buffer_load_dword v64, s[12:15], 0 offen lds               // 000000010E80: E0511000 80030040
	s_mul_i32 s60, 4, 0x108                                    // 000000010E88: 923CFF84 00000108
	s_add_u32 m0, m0, s60                                      // 000000010E90: 807C3C7C
	buffer_load_dword v65, s[12:15], 0 offen lds               // 000000010E94: E0511000 80030041
	s_mul_i32 s60, 4, 0x108                                    // 000000010E9C: 923CFF84 00000108
	s_add_u32 m0, m0, s60                                      // 000000010EA4: 807C3C7C
	buffer_load_dword v66, s[12:15], 0 offen lds               // 000000010EA8: E0511000 80030042
	s_mul_i32 s60, 4, 0x108                                    // 000000010EB0: 923CFF84 00000108
	s_add_u32 m0, m0, s60                                      // 000000010EB8: 807C3C7C
	buffer_load_dword v67, s[12:15], 0 offen lds               // 000000010EBC: E0511000 80030043
	s_mul_i32 s60, 4, 0x108                                    // 000000010EC4: 923CFF84 00000108
	s_add_u32 m0, m0, s60                                      // 000000010ECC: 807C3C7C
	s_add_u32 s12, s74, s12                                    // 000000010ED0: 800C0C4A
	s_addc_u32 s13, 0, s13                                     // 000000010ED4: 820D0D80
	v_lshrrev_b32_e32 v64, 4, v0                               // 000000010ED8: 20800084
	v_lshlrev_b32_e32 v64, 2, v64                              // 000000010EDC: 24808082
	v_and_b32_e32 v65, 3, v0                                   // 000000010EE0: 26820083
	v_add_u32_e32 v64, v65, v64                                // 000000010EE4: 68808141
	v_lshlrev_b32_e32 v59, 2, v64                              // 000000010EE8: 24768082
	v_mov_b32_e32 v60, v59                                     // 000000010EEC: 7E78033B
	s_mul_i32 s60, s2, 64                                      // 000000010EF0: 923CC002
	s_add_u32 s32, s60, s32                                    // 000000010EF4: 8020203C
	s_addc_u32 s33, 0, s33                                     // 000000010EF8: 82212180
	s_add_u32 s36, s60, s36                                    // 000000010EFC: 8024243C
	s_addc_u32 s37, 0, s37                                     // 000000010F00: 82252580
	s_mul_i32 s60, s2, s76                                     // 000000010F04: 923C4C02
	s_mul_i32 s61, s84, s75                                    // 000000010F08: 923D4B54
	s_add_u32 s60, s60, s61                                    // 000000010F0C: 803C3D3C
	s_add_u32 s8, s60, s8                                      // 000000010F10: 8008083C
	s_addc_u32 s9, 0, s9                                       // 000000010F14: 82090980
	s_mov_b32 s70, 0                                           // 000000010F18: BEC60080
	s_and_b32 s71, s72, 0xffffff00                             // 000000010F1C: 8647FF48 FFFFFF00
	s_mov_b32 s42, 0xff00ff00                                  // 000000010F24: BEAA00FF FF00FF00
	s_mov_b32 s43, 0xff00ff00                                  // 000000010F2C: BEAB00FF FF00FF00
	s_mov_b32 s44, 0xf0f0f0f0                                  // 000000010F34: BEAC00FF F0F0F0F0
	s_mov_b32 s45, 0xf0f0f0f0                                  // 000000010F3C: BEAD00FF F0F0F0F0
	s_mov_b32 s78, 0xff00ff                                    // 000000010F44: BECE00FF 00FF00FF
	s_mov_b32 s79, 0xff00ff                                    // 000000010F4C: BECF00FF 00FF00FF
	v_mul_i32_i24_e64 v63, 64, s66                             // 000000010F54: D106003F 000084C0
	v_mov_b32_e32 v54, s68                                     // 000000010F5C: 7E6C0244
	s_mov_b32 s52, 0x7060302                                   // 000000010F60: BEB400FF 07060302
	s_mov_b32 s53, 0x400                                       // 000000010F68: BEB500FF 00000400
	s_mov_b32 s54, 0x40100                                     // 000000010F70: BEB600FF 00040100
	s_mov_b32 s55, 0x4020100                                   // 000000010F78: BEB700FF 04020100
	s_mov_b32 s6, 0x3fb8aa3b                                   // 000000010F80: BE8600FF 3FB8AA3B
	v_mov_b32_e32 v11, 0xff800000                              // 000000010F88: 7E1602FF FF800000
	v_mov_b32_e32 v12, 0xff800000                              // 000000010F90: 7E1802FF FF800000
	v_mov_b32_e32 v49, 0                                       // 000000010F98: 7E620280
	v_mov_b32_e32 v50, 0                                       // 000000010F9C: 7E640280
	v_mov_b32_e32 v51, 0                                       // 000000010FA0: 7E660280
	v_mov_b32_e32 v38, 0                                       // 000000010FA4: 7E4C0280
	v_mov_b32_e32 v39, 0                                       // 000000010FA8: 7E4E0280
	v_mov_b32_e32 v40, 0                                       // 000000010FAC: 7E500280
	v_mov_b32_e32 v44, 0                                       // 000000010FB0: 7E580280
	v_mov_b32_e32 v45, 0                                       // 000000010FB4: 7E5A0280
	v_mov_b32_e32 v46, 0                                       // 000000010FB8: 7E5C0280
	v_add_u32_e32 v1, s56, v1                                  // 000000010FBC: 68020238
	v_and_b32_e32 v7, 15, v0                                   // 000000010FC0: 260E008F
	v_lshlrev_b32_e32 v7, 2, v7                                // 000000010FC4: 240E0E82
	v_lshlrev_b32_e32 v8, 2, v0                                // 000000010FC8: 24100082
	s_mul_i32 s60, 0x100, s7                                   // 000000010FCC: 923C07FF 00000100
	v_add_u32_e32 v8, s60, v8                                  // 000000010FD4: 6810103C
	v_lshrrev_b32_e32 v64, 4, v0                               // 000000010FD8: 20800084
	v_lshlrev_b32_e32 v65, 6, v64                              // 000000010FDC: 24828086
	v_and_b32_e32 v64, 15, v0                                  // 000000010FE0: 2680008F
	v_lshlrev_b32_e32 v64, 1, v64                              // 000000010FE4: 24808081
	v_add_u32_e32 v65, v64, v65                                // 000000010FE8: 68828340
	v_lshlrev_b32_e32 v9, 2, v65                               // 000000010FEC: 24128282
	v_lshrrev_b32_e32 v64, 5, v0                               // 000000010FF0: 20800085
	v_lshlrev_b32_e32 v65, 5, v64                              // 000000010FF4: 24828085
	v_and_b32_e32 v64, 31, v0                                  // 000000010FF8: 2680009F
	v_lshrrev_b32_e32 v66, 4, v64                              // 000000010FFC: 20848084
	v_add_u32_e32 v65, v66, v65                                // 000000011000: 68828342
	v_and_b32_e32 v64, 15, v0                                  // 000000011004: 2680008F
	v_lshlrev_b32_e32 v64, 1, v64                              // 000000011008: 24808081
	v_add_u32_e32 v65, v64, v65                                // 00000001100C: 68828340
	v_lshlrev_b32_e32 v64, 2, v65                              // 000000011010: 24808282
	s_mul_i32 s60, 0x100, s7                                   // 000000011014: 923C07FF 00000100
	v_add_u32_e64 v10, v64, s60                                // 00000001101C: D134000A 00007940
	v_lshlrev_b32_e32 v5, 4, v0                                // 000000011024: 240A0084
	s_mul_i32 s60, s2, s69                                     // 000000011028: 923C4502
	s_add_u32 s16, s60, s16                                    // 00000001102C: 8010103C
	s_addc_u32 s17, 0, s17                                     // 000000011030: 82111180
	v_and_b32_e32 v64, 15, v0                                  // 000000011034: 2680008F
	v_lshlrev_b32_e32 v6, 4, v64                               // 000000011038: 240C8084
	s_mul_i32 s61, s2, s69                                     // 00000001103C: 923D4502
	s_mul_i32 s60, s7, 0x100                                   // 000000011040: 923CFF07 00000100
	s_add_u32 s60, s60, s61                                    // 000000011048: 803C3D3C
	s_add_u32 s20, s60, s20                                    // 00000001104C: 8014143C
	s_addc_u32 s21, 0, s21                                     // 000000011050: 82151580
	s_waitcnt vmcnt(4)                                         // 000000011054: BF8C0F74
	v_mul_u32_u24_dpp v64, v16, v54 row_newbcast:0 row_mask:0xf bank_mask:0xf// 000000011058: 10806CFA FF015010
	v_mul_u32_u24_dpp v65, v16, v54 row_newbcast:4 row_mask:0xf bank_mask:0xf// 000000011060: 10826CFA FF015410
	v_mul_u32_u24_dpp v66, v16, v54 row_newbcast:8 row_mask:0xf bank_mask:0xf// 000000011068: 10846CFA FF015810
	v_mul_u32_u24_dpp v67, v16, v54 row_newbcast:12 row_mask:0xf bank_mask:0xf// 000000011070: 10866CFA FF015C10
	v_add_u32_e32 v22, v64, v5                                 // 000000011078: 682C0B40
	v_add_u32_e32 v23, v65, v5                                 // 00000001107C: 682E0B41
	v_add_u32_e32 v24, v66, v5                                 // 000000011080: 68300B42
	v_add_u32_e32 v25, v67, v5                                 // 000000011084: 68320B43
	v_mul_u32_u24_dpp v64, v16, v54 row_newbcast:1 row_mask:0xf bank_mask:0xf// 000000011088: 10806CFA FF015110
	v_mul_u32_u24_dpp v65, v16, v54 row_newbcast:5 row_mask:0xf bank_mask:0xf// 000000011090: 10826CFA FF015510
	v_mul_u32_u24_dpp v66, v16, v54 row_newbcast:9 row_mask:0xf bank_mask:0xf// 000000011098: 10846CFA FF015910
	v_mul_u32_u24_dpp v67, v16, v54 row_newbcast:13 row_mask:0xf bank_mask:0xf// 0000000110A0: 10866CFA FF015D10
	v_add_u32_e32 v30, v64, v6                                 // 0000000110A8: 683C0D40
	v_add_u32_e32 v31, v65, v6                                 // 0000000110AC: 683E0D41
	v_add_u32_e32 v32, v66, v6                                 // 0000000110B0: 68400D42
	v_add_u32_e32 v33, v67, v6                                 // 0000000110B4: 68420D43
	v_mul_u32_u24_dpp v64, v16, v63 quad_perm:[0,0,0,0] row_mask:0xf bank_mask:0xf// 0000000110B8: 10807EFA FF000010
	v_add_u32_e32 v2, v64, v59                                 // 0000000110C0: 68047740
	v_mul_u32_u24_dpp v64, v16, v63 quad_perm:[0,0,0,0] row_mask:0xf bank_mask:0xf// 0000000110C4: 10807EFA FF000010
	v_add_u32_e32 v55, v64, v60                                // 0000000110CC: 686E7940
	buffer_load_dword v42, v2, s[32:35], 0 offen               // 0000000110D0: E0501000 80082A02
	buffer_load_dwordx4 a[0:3], v22, s[16:19], 0 offen         // 0000000110D8: E05C1000 80840016
	buffer_load_dwordx4 a[4:7], v22, s[16:19], 0 offen offset:1024// 0000000110E0: E05C1400 80840416
	buffer_load_dwordx4 a[8:11], v23, s[16:19], 0 offen        // 0000000110E8: E05C1000 80840817
	buffer_load_dwordx4 a[12:15], v23, s[16:19], 0 offen offset:1024// 0000000110F0: E05C1400 80840C17
	buffer_load_dwordx4 a[16:19], v24, s[16:19], 0 offen       // 0000000110F8: E05C1000 80841018
	buffer_load_dwordx4 a[20:23], v24, s[16:19], 0 offen offset:1024// 000000011100: E05C1400 80841418
	buffer_load_dwordx4 a[24:27], v25, s[16:19], 0 offen       // 000000011108: E05C1000 80841819
	buffer_load_dwordx4 a[28:31], v25, s[16:19], 0 offen offset:1024// 000000011110: E05C1400 80841C19
	buffer_load_dword v57, v55, s[36:39], 0 offen              // 000000011118: E0501000 80093937
	buffer_load_dwordx4 a[64:67], v30, s[20:23], 0 offen       // 000000011120: E05C1000 8085401E
	buffer_load_dwordx4 a[68:71], v31, s[20:23], 0 offen       // 000000011128: E05C1000 8085441F
	buffer_load_dwordx4 a[72:75], v32, s[20:23], 0 offen       // 000000011130: E05C1000 80854820
	buffer_load_dwordx4 a[76:79], v33, s[20:23], 0 offen       // 000000011138: E05C1000 80854C21
	buffer_load_dwordx4 a[80:83], v30, s[20:23], 0 offen offset:1024// 000000011140: E05C1400 8085501E
	buffer_load_dwordx4 a[84:87], v31, s[20:23], 0 offen offset:1024// 000000011148: E05C1400 8085541F
	buffer_load_dwordx4 a[88:91], v32, s[20:23], 0 offen offset:1024// 000000011150: E05C1400 80855820
	buffer_load_dwordx4 a[92:95], v33, s[20:23], 0 offen offset:1024// 000000011158: E05C1400 80855C21
	v_lshrrev_b32_e32 v64, 4, v0                               // 000000011160: 20800084
	v_lshlrev_b32_e32 v65, 1, v64                              // 000000011164: 24828081
	v_and_b32_e32 v64, 15, v0                                  // 000000011168: 2680008F
	v_mul_i32_i24_e32 v64, 0x42, v64                           // 00000001116C: 0C8080FF 00000042
	v_add_u32_e32 v65, v64, v65                                // 000000011174: 68828340
	v_lshlrev_b32_e32 v4, 2, v65                               // 000000011178: 24088282
	s_mul_i32 s60, s7, 32                                      // 00000001117C: 923CA007
	v_add_u32_e32 v4, s60, v4                                  // 000000011180: 6808083C
	s_waitcnt vmcnt(16) lgkmcnt(0)                             // 000000011184: BF8C4070
	s_barrier                                                  // 000000011188: BF8A0000
	ds_read_b64 v[80:81], v4                                   // 00000001118C: D8EC0000 50000004
	ds_read_b64 v[84:85], v4 offset:128                        // 000000011194: D8EC0080 54000004
	s_waitcnt lgkmcnt(0)                                       // 00000001119C: BF8CC07F
	v_and_b32_e32 v64, 0xffff, v80                             // 0000000111A0: 2680A0FF 0000FFFF
	v_lshrrev_b32_e32 v65, 16, v80                             // 0000000111A8: 2082A090
	v_and_b32_e32 v66, 0xffff, v81                             // 0000000111AC: 2684A2FF 0000FFFF
	v_lshrrev_b32_e32 v67, 16, v81                             // 0000000111B4: 2086A290
	v_cvt_f32_f16_e32 v80, v64                                 // 0000000111B8: 7EA01740
	v_cvt_f32_f16_e32 v81, v65                                 // 0000000111BC: 7EA21741
	v_cvt_f32_f16_e32 v82, v66                                 // 0000000111C0: 7EA41742
	v_cvt_f32_f16_e32 v83, v67                                 // 0000000111C4: 7EA61743
	v_and_b32_e32 v64, 0xffff, v84                             // 0000000111C8: 2680A8FF 0000FFFF
	v_lshrrev_b32_e32 v65, 16, v84                             // 0000000111D0: 2082A890
	v_and_b32_e32 v66, 0xffff, v85                             // 0000000111D4: 2684AAFF 0000FFFF
	v_lshrrev_b32_e32 v67, 16, v85                             // 0000000111DC: 2086AA90
	v_cvt_f32_f16_e32 v84, v64                                 // 0000000111E0: 7EA81740
	v_cvt_f32_f16_e32 v85, v65                                 // 0000000111E4: 7EAA1741
	v_cvt_f32_f16_e32 v86, v66                                 // 0000000111E8: 7EAC1742
	v_cvt_f32_f16_e32 v87, v67                                 // 0000000111EC: 7EAE1743
	v_mov_b32_e32 v48, 0x358637bd                              // 0000000111F0: 7E6002FF 358637BD
	v_max3_f32 v48, |v80|, |v81|, v48                          // 0000000111F8: D1D30330 04C2A350
	v_max3_f32 v48, |v82|, |v83|, v48                          // 000000011200: D1D30330 04C2A752
	v_max3_f32 v48, |v84|, |v85|, v48                          // 000000011208: D1D30330 04C2AB54
	v_max3_f32 v48, |v86|, |v87|, v48                          // 000000011210: D1D30330 04C2AF56
	ds_write_b32 v8, v48 offset:16896                          // 000000011218: D81A4200 00003008
	s_waitcnt lgkmcnt(0)                                       // 000000011220: BF8CC07F
	s_barrier                                                  // 000000011224: BF8A0000
	ds_read_b32 v64, v7 offset:16896                           // 000000011228: D86C4200 40000007
	ds_read_b32 v65, v7 offset:16960                           // 000000011230: D86C4240 41000007
	ds_read_b32 v66, v7 offset:17024                           // 000000011238: D86C4280 42000007
	ds_read_b32 v67, v7 offset:17088                           // 000000011240: D86C42C0 43000007
	ds_read_b32 v68, v7 offset:17152                           // 000000011248: D86C4300 44000007
	ds_read_b32 v69, v7 offset:17216                           // 000000011250: D86C4340 45000007
	ds_read_b32 v70, v7 offset:17280                           // 000000011258: D86C4380 46000007
	ds_read_b32 v71, v7 offset:17344                           // 000000011260: D86C43C0 47000007
	ds_read_b32 v72, v7 offset:17408                           // 000000011268: D86C4400 48000007
	ds_read_b32 v73, v7 offset:17472                           // 000000011270: D86C4440 49000007
	ds_read_b32 v74, v7 offset:17536                           // 000000011278: D86C4480 4A000007
	ds_read_b32 v75, v7 offset:17600                           // 000000011280: D86C44C0 4B000007
	ds_read_b32 v76, v7 offset:17664                           // 000000011288: D86C4500 4C000007
	ds_read_b32 v77, v7 offset:17728                           // 000000011290: D86C4540 4D000007
	ds_read_b32 v78, v7 offset:17792                           // 000000011298: D86C4580 4E000007
	ds_read_b32 v79, v7 offset:17856                           // 0000000112A0: D86C45C0 4F000007
	s_waitcnt lgkmcnt(0)                                       // 0000000112A8: BF8CC07F
	v_max3_f32 v48, |v64|, |v65|, v48                          // 0000000112AC: D1D30330 04C28340
	v_max3_f32 v48, |v66|, |v67|, v48                          // 0000000112B4: D1D30330 04C28742
	v_max3_f32 v48, |v68|, |v69|, v48                          // 0000000112BC: D1D30330 04C28B44
	v_max3_f32 v48, |v70|, |v71|, v48                          // 0000000112C4: D1D30330 04C28F46
	v_max3_f32 v48, |v72|, |v73|, v48                          // 0000000112CC: D1D30330 04C29348
	v_max3_f32 v48, |v74|, |v75|, v48                          // 0000000112D4: D1D30330 04C2974A
	v_max3_f32 v48, |v76|, |v77|, v48                          // 0000000112DC: D1D30330 04C29B4C
	v_max3_f32 v48, |v78|, |v79|, v48                          // 0000000112E4: D1D30330 04C29F4E
	v_rcp_f32_e32 v48, v48                                     // 0000000112EC: 7E604530
	s_nop 1                                                    // 0000000112F0: BF800001
	v_mul_f32_e32 v48, 0x42fe0000, v48                         // 0000000112F4: 0A6060FF 42FE0000
	v_mul_f32_e32 v80, v48, v80                                // 0000000112FC: 0AA0A130
	v_mul_f32_e32 v81, v48, v81                                // 000000011300: 0AA2A330
	v_mul_f32_e32 v82, v48, v82                                // 000000011304: 0AA4A530
	v_mul_f32_e32 v83, v48, v83                                // 000000011308: 0AA6A730
	v_mul_f32_e32 v84, v48, v84                                // 00000001130C: 0AA8A930
	v_mul_f32_e32 v85, v48, v85                                // 000000011310: 0AAAAB30
	v_mul_f32_e32 v86, v48, v86                                // 000000011314: 0AACAD30
	v_mul_f32_e32 v87, v48, v87                                // 000000011318: 0AAEAF30
	v_cvt_i32_f32_e32 v80, v80                                 // 00000001131C: 7EA01150
	v_cvt_i32_f32_e32 v81, v81                                 // 000000011320: 7EA21151
	v_cvt_i32_f32_e32 v82, v82                                 // 000000011324: 7EA41152
	v_cvt_i32_f32_e32 v83, v83                                 // 000000011328: 7EA61153
	v_cvt_i32_f32_e32 v84, v84                                 // 00000001132C: 7EA81154
	v_cvt_i32_f32_e32 v85, v85                                 // 000000011330: 7EAA1155
	v_cvt_i32_f32_e32 v86, v86                                 // 000000011334: 7EAC1156
	v_cvt_i32_f32_e32 v87, v87                                 // 000000011338: 7EAE1157
	v_rcp_f32_e32 v18, v48                                     // 00000001133C: 7E244530
	v_perm_b32 v80, v81, v80, s53                              // 000000011340: D1ED0050 00D6A151
	v_perm_b32 v80, v82, v80, s54                              // 000000011348: D1ED0050 00DAA152
	v_perm_b32 v80, v83, v80, s55                              // 000000011350: D1ED0050 00DEA153
	v_perm_b32 v81, v85, v84, s53                              // 000000011358: D1ED0051 00D6A955
	v_perm_b32 v81, v86, v81, s54                              // 000000011360: D1ED0051 00DAA356
	v_perm_b32 v81, v87, v81, s55                              // 000000011368: D1ED0051 00DEA357
	ds_write_b32 v10, v80 offset:25088                         // 000000011370: D81A6200 0000500A
	ds_write_b32 v10, v81 offset:26112                         // 000000011378: D81A6600 0000510A
	s_waitcnt lgkmcnt(0)                                       // 000000011380: BF8CC07F
	s_barrier                                                  // 000000011384: BF8A0000
	ds_read_b64 v[80:81], v9 offset:25088                      // 000000011388: D8EC6200 50000009
	ds_read_b64 v[82:83], v9 offset:25216                      // 000000011390: D8EC6280 52000009
	ds_read_b64 v[84:85], v9 offset:26112                      // 000000011398: D8EC6600 54000009
	ds_read_b64 v[86:87], v9 offset:26240                      // 0000000113A0: D8EC6680 56000009
	v_mov_b32_e32 v208, 0                                      // 0000000113A8: 7FA00280
	v_mov_b32_e32 v209, 0                                      // 0000000113AC: 7FA20280
	v_mov_b32_e32 v210, 0                                      // 0000000113B0: 7FA40280
	v_mov_b32_e32 v211, 0                                      // 0000000113B4: 7FA60280
	v_mov_b32_e32 v212, 0                                      // 0000000113B8: 7FA80280
	v_mov_b32_e32 v213, 0                                      // 0000000113BC: 7FAA0280
	v_mov_b32_e32 v214, 0                                      // 0000000113C0: 7FAC0280
	v_mov_b32_e32 v215, 0                                      // 0000000113C4: 7FAE0280
	v_mov_b32_e32 v176, 0                                      // 0000000113C8: 7F600280
	v_mov_b32_e32 v177, 0                                      // 0000000113CC: 7F620280
	v_mov_b32_e32 v178, 0                                      // 0000000113D0: 7F640280
	v_mov_b32_e32 v179, 0                                      // 0000000113D4: 7F660280
	v_mov_b32_e32 v180, 0                                      // 0000000113D8: 7F680280
	v_mov_b32_e32 v181, 0                                      // 0000000113DC: 7F6A0280
	v_mov_b32_e32 v182, 0                                      // 0000000113E0: 7F6C0280
	v_mov_b32_e32 v183, 0                                      // 0000000113E4: 7F6E0280
	ds_read_b64 v[88:89], v4 offset:4224                       // 0000000113E8: D8EC1080 58000004
	ds_read_b64 v[92:93], v4 offset:4352                       // 0000000113F0: D8EC1100 5C000004
	s_waitcnt lgkmcnt(0)                                       // 0000000113F8: BF8CC07F
	v_and_b32_e32 v64, 0xffff, v88                             // 0000000113FC: 2680B0FF 0000FFFF
	v_lshrrev_b32_e32 v65, 16, v88                             // 000000011404: 2082B090
	v_and_b32_e32 v66, 0xffff, v89                             // 000000011408: 2684B2FF 0000FFFF
	v_lshrrev_b32_e32 v67, 16, v89                             // 000000011410: 2086B290
	v_cvt_f32_f16_e32 v88, v64                                 // 000000011414: 7EB01740
	v_cvt_f32_f16_e32 v89, v65                                 // 000000011418: 7EB21741
	v_cvt_f32_f16_e32 v90, v66                                 // 00000001141C: 7EB41742
	v_cvt_f32_f16_e32 v91, v67                                 // 000000011420: 7EB61743
	v_and_b32_e32 v64, 0xffff, v92                             // 000000011424: 2680B8FF 0000FFFF
	v_lshrrev_b32_e32 v65, 16, v92                             // 00000001142C: 2082B890
	v_and_b32_e32 v66, 0xffff, v93                             // 000000011430: 2684BAFF 0000FFFF
	v_lshrrev_b32_e32 v67, 16, v93                             // 000000011438: 2086BA90
	v_cvt_f32_f16_e32 v92, v64                                 // 00000001143C: 7EB81740
	v_cvt_f32_f16_e32 v93, v65                                 // 000000011440: 7EBA1741
	v_cvt_f32_f16_e32 v94, v66                                 // 000000011444: 7EBC1742
	v_cvt_f32_f16_e32 v95, v67                                 // 000000011448: 7EBE1743
	v_mov_b32_e32 v48, 0x358637bd                              // 00000001144C: 7E6002FF 358637BD
	v_max3_f32 v48, |v88|, |v89|, v48                          // 000000011454: D1D30330 04C2B358
	v_max3_f32 v48, |v90|, |v91|, v48                          // 00000001145C: D1D30330 04C2B75A
	v_max3_f32 v48, |v92|, |v93|, v48                          // 000000011464: D1D30330 04C2BB5C
	v_max3_f32 v48, |v94|, |v95|, v48                          // 00000001146C: D1D30330 04C2BF5E
	ds_write_b32 v8, v48 offset:16896                          // 000000011474: D81A4200 00003008
	s_waitcnt lgkmcnt(0)                                       // 00000001147C: BF8CC07F
	s_barrier                                                  // 000000011480: BF8A0000
	ds_read_b32 v64, v7 offset:16896                           // 000000011484: D86C4200 40000007
	ds_read_b32 v65, v7 offset:16960                           // 00000001148C: D86C4240 41000007
	ds_read_b32 v66, v7 offset:17024                           // 000000011494: D86C4280 42000007
	ds_read_b32 v67, v7 offset:17088                           // 00000001149C: D86C42C0 43000007
	ds_read_b32 v68, v7 offset:17152                           // 0000000114A4: D86C4300 44000007
	ds_read_b32 v69, v7 offset:17216                           // 0000000114AC: D86C4340 45000007
	ds_read_b32 v70, v7 offset:17280                           // 0000000114B4: D86C4380 46000007
	ds_read_b32 v71, v7 offset:17344                           // 0000000114BC: D86C43C0 47000007
	ds_read_b32 v72, v7 offset:17408                           // 0000000114C4: D86C4400 48000007
	ds_read_b32 v73, v7 offset:17472                           // 0000000114CC: D86C4440 49000007
	ds_read_b32 v74, v7 offset:17536                           // 0000000114D4: D86C4480 4A000007
	ds_read_b32 v75, v7 offset:17600                           // 0000000114DC: D86C44C0 4B000007
	ds_read_b32 v76, v7 offset:17664                           // 0000000114E4: D86C4500 4C000007
	ds_read_b32 v77, v7 offset:17728                           // 0000000114EC: D86C4540 4D000007
	ds_read_b32 v78, v7 offset:17792                           // 0000000114F4: D86C4580 4E000007
	ds_read_b32 v79, v7 offset:17856                           // 0000000114FC: D86C45C0 4F000007
	s_waitcnt lgkmcnt(0)                                       // 000000011504: BF8CC07F
	v_max3_f32 v48, |v64|, |v65|, v48                          // 000000011508: D1D30330 04C28340
	v_max3_f32 v48, |v66|, |v67|, v48                          // 000000011510: D1D30330 04C28742
	v_max3_f32 v48, |v68|, |v69|, v48                          // 000000011518: D1D30330 04C28B44
	v_max3_f32 v48, |v70|, |v71|, v48                          // 000000011520: D1D30330 04C28F46
	v_max3_f32 v48, |v72|, |v73|, v48                          // 000000011528: D1D30330 04C29348
	v_max3_f32 v48, |v74|, |v75|, v48                          // 000000011530: D1D30330 04C2974A
	v_max3_f32 v48, |v76|, |v77|, v48                          // 000000011538: D1D30330 04C29B4C
	v_max3_f32 v48, |v78|, |v79|, v48                          // 000000011540: D1D30330 04C29F4E
	v_rcp_f32_e32 v48, v48                                     // 000000011548: 7E604530
	s_nop 1                                                    // 00000001154C: BF800001
	v_mul_f32_e32 v48, 0x42fe0000, v48                         // 000000011550: 0A6060FF 42FE0000
	v_mul_f32_e32 v88, v48, v88                                // 000000011558: 0AB0B130
	v_mul_f32_e32 v89, v48, v89                                // 00000001155C: 0AB2B330
	v_mul_f32_e32 v90, v48, v90                                // 000000011560: 0AB4B530
	v_mul_f32_e32 v91, v48, v91                                // 000000011564: 0AB6B730
	v_mul_f32_e32 v92, v48, v92                                // 000000011568: 0AB8B930
	v_mul_f32_e32 v93, v48, v93                                // 00000001156C: 0ABABB30
	v_mul_f32_e32 v94, v48, v94                                // 000000011570: 0ABCBD30
	v_mul_f32_e32 v95, v48, v95                                // 000000011574: 0ABEBF30
	v_cvt_i32_f32_e32 v88, v88                                 // 000000011578: 7EB01158
	v_cvt_i32_f32_e32 v89, v89                                 // 00000001157C: 7EB21159
	v_cvt_i32_f32_e32 v90, v90                                 // 000000011580: 7EB4115A
	v_cvt_i32_f32_e32 v91, v91                                 // 000000011584: 7EB6115B
	v_cvt_i32_f32_e32 v92, v92                                 // 000000011588: 7EB8115C
	v_cvt_i32_f32_e32 v93, v93                                 // 00000001158C: 7EBA115D
	v_cvt_i32_f32_e32 v94, v94                                 // 000000011590: 7EBC115E
	v_cvt_i32_f32_e32 v95, v95                                 // 000000011594: 7EBE115F
	v_rcp_f32_e32 v19, v48                                     // 000000011598: 7E264530
	v_perm_b32 v88, v89, v88, s53                              // 00000001159C: D1ED0058 00D6B159
	v_perm_b32 v88, v90, v88, s54                              // 0000000115A4: D1ED0058 00DAB15A
	v_perm_b32 v88, v91, v88, s55                              // 0000000115AC: D1ED0058 00DEB15B
	v_perm_b32 v89, v93, v92, s53                              // 0000000115B4: D1ED0059 00D6B95D
	v_perm_b32 v89, v94, v89, s54                              // 0000000115BC: D1ED0059 00DAB35E
	v_perm_b32 v89, v95, v89, s55                              // 0000000115C4: D1ED0059 00DEB35F
	ds_write_b32 v10, v88 offset:25088                         // 0000000115CC: D81A6200 0000580A
	ds_write_b32 v10, v89 offset:26112                         // 0000000115D4: D81A6600 0000590A
	s_waitcnt lgkmcnt(0)                                       // 0000000115DC: BF8CC07F
	s_barrier                                                  // 0000000115E0: BF8A0000
	ds_read_b64 v[88:89], v9 offset:25088                      // 0000000115E4: D8EC6200 58000009
	ds_read_b64 v[90:91], v9 offset:25216                      // 0000000115EC: D8EC6280 5A000009
	ds_read_b64 v[92:93], v9 offset:26112                      // 0000000115F4: D8EC6600 5C000009
	ds_read_b64 v[94:95], v9 offset:26240                      // 0000000115FC: D8EC6680 5E000009
	v_mov_b32_e32 v216, 0                                      // 000000011604: 7FB00280
	v_mov_b32_e32 v217, 0                                      // 000000011608: 7FB20280
	v_mov_b32_e32 v218, 0                                      // 00000001160C: 7FB40280
	v_mov_b32_e32 v219, 0                                      // 000000011610: 7FB60280
	v_mov_b32_e32 v220, 0                                      // 000000011614: 7FB80280
	v_mov_b32_e32 v221, 0                                      // 000000011618: 7FBA0280
	v_mov_b32_e32 v222, 0                                      // 00000001161C: 7FBC0280
	v_mov_b32_e32 v223, 0                                      // 000000011620: 7FBE0280
	v_mov_b32_e32 v184, 0                                      // 000000011624: 7F700280
	v_mov_b32_e32 v185, 0                                      // 000000011628: 7F720280
	v_mov_b32_e32 v186, 0                                      // 00000001162C: 7F740280
	v_mov_b32_e32 v187, 0                                      // 000000011630: 7F760280
	v_mov_b32_e32 v188, 0                                      // 000000011634: 7F780280
	v_mov_b32_e32 v189, 0                                      // 000000011638: 7F7A0280
	v_mov_b32_e32 v190, 0                                      // 00000001163C: 7F7C0280
	v_mov_b32_e32 v191, 0                                      // 000000011640: 7F7E0280
	ds_read_b64 v[96:97], v4 offset:8448                       // 000000011644: D8EC2100 60000004
	ds_read_b64 v[100:101], v4 offset:8576                     // 00000001164C: D8EC2180 64000004
	s_waitcnt lgkmcnt(0)                                       // 000000011654: BF8CC07F
	v_and_b32_e32 v64, 0xffff, v96                             // 000000011658: 2680C0FF 0000FFFF
	v_lshrrev_b32_e32 v65, 16, v96                             // 000000011660: 2082C090
	v_and_b32_e32 v66, 0xffff, v97                             // 000000011664: 2684C2FF 0000FFFF
	v_lshrrev_b32_e32 v67, 16, v97                             // 00000001166C: 2086C290
	v_cvt_f32_f16_e32 v96, v64                                 // 000000011670: 7EC01740
	v_cvt_f32_f16_e32 v97, v65                                 // 000000011674: 7EC21741
	v_cvt_f32_f16_e32 v98, v66                                 // 000000011678: 7EC41742
	v_cvt_f32_f16_e32 v99, v67                                 // 00000001167C: 7EC61743
	v_and_b32_e32 v64, 0xffff, v100                            // 000000011680: 2680C8FF 0000FFFF
	v_lshrrev_b32_e32 v65, 16, v100                            // 000000011688: 2082C890
	v_and_b32_e32 v66, 0xffff, v101                            // 00000001168C: 2684CAFF 0000FFFF
	v_lshrrev_b32_e32 v67, 16, v101                            // 000000011694: 2086CA90
	v_cvt_f32_f16_e32 v100, v64                                // 000000011698: 7EC81740
	v_cvt_f32_f16_e32 v101, v65                                // 00000001169C: 7ECA1741
	v_cvt_f32_f16_e32 v102, v66                                // 0000000116A0: 7ECC1742
	v_cvt_f32_f16_e32 v103, v67                                // 0000000116A4: 7ECE1743
	v_mov_b32_e32 v48, 0x358637bd                              // 0000000116A8: 7E6002FF 358637BD
	v_max3_f32 v48, |v96|, |v97|, v48                          // 0000000116B0: D1D30330 04C2C360
	v_max3_f32 v48, |v98|, |v99|, v48                          // 0000000116B8: D1D30330 04C2C762
	v_max3_f32 v48, |v100|, |v101|, v48                        // 0000000116C0: D1D30330 04C2CB64
	v_max3_f32 v48, |v102|, |v103|, v48                        // 0000000116C8: D1D30330 04C2CF66
	ds_write_b32 v8, v48 offset:16896                          // 0000000116D0: D81A4200 00003008
	s_waitcnt lgkmcnt(0)                                       // 0000000116D8: BF8CC07F
	s_barrier                                                  // 0000000116DC: BF8A0000
	ds_read_b32 v64, v7 offset:16896                           // 0000000116E0: D86C4200 40000007
	ds_read_b32 v65, v7 offset:16960                           // 0000000116E8: D86C4240 41000007
	ds_read_b32 v66, v7 offset:17024                           // 0000000116F0: D86C4280 42000007
	ds_read_b32 v67, v7 offset:17088                           // 0000000116F8: D86C42C0 43000007
	ds_read_b32 v68, v7 offset:17152                           // 000000011700: D86C4300 44000007
	ds_read_b32 v69, v7 offset:17216                           // 000000011708: D86C4340 45000007
	ds_read_b32 v70, v7 offset:17280                           // 000000011710: D86C4380 46000007
	ds_read_b32 v71, v7 offset:17344                           // 000000011718: D86C43C0 47000007
	ds_read_b32 v72, v7 offset:17408                           // 000000011720: D86C4400 48000007
	ds_read_b32 v73, v7 offset:17472                           // 000000011728: D86C4440 49000007
	ds_read_b32 v74, v7 offset:17536                           // 000000011730: D86C4480 4A000007
	ds_read_b32 v75, v7 offset:17600                           // 000000011738: D86C44C0 4B000007
	ds_read_b32 v76, v7 offset:17664                           // 000000011740: D86C4500 4C000007
	ds_read_b32 v77, v7 offset:17728                           // 000000011748: D86C4540 4D000007
	ds_read_b32 v78, v7 offset:17792                           // 000000011750: D86C4580 4E000007
	ds_read_b32 v79, v7 offset:17856                           // 000000011758: D86C45C0 4F000007
	s_waitcnt lgkmcnt(0)                                       // 000000011760: BF8CC07F
	v_max3_f32 v48, |v64|, |v65|, v48                          // 000000011764: D1D30330 04C28340
	v_max3_f32 v48, |v66|, |v67|, v48                          // 00000001176C: D1D30330 04C28742
	v_max3_f32 v48, |v68|, |v69|, v48                          // 000000011774: D1D30330 04C28B44
	v_max3_f32 v48, |v70|, |v71|, v48                          // 00000001177C: D1D30330 04C28F46
	v_max3_f32 v48, |v72|, |v73|, v48                          // 000000011784: D1D30330 04C29348
	v_max3_f32 v48, |v74|, |v75|, v48                          // 00000001178C: D1D30330 04C2974A
	v_max3_f32 v48, |v76|, |v77|, v48                          // 000000011794: D1D30330 04C29B4C
	v_max3_f32 v48, |v78|, |v79|, v48                          // 00000001179C: D1D30330 04C29F4E
	v_rcp_f32_e32 v48, v48                                     // 0000000117A4: 7E604530
	s_nop 1                                                    // 0000000117A8: BF800001
	v_mul_f32_e32 v48, 0x42fe0000, v48                         // 0000000117AC: 0A6060FF 42FE0000
	v_mul_f32_e32 v96, v48, v96                                // 0000000117B4: 0AC0C130
	v_mul_f32_e32 v97, v48, v97                                // 0000000117B8: 0AC2C330
	v_mul_f32_e32 v98, v48, v98                                // 0000000117BC: 0AC4C530
	v_mul_f32_e32 v99, v48, v99                                // 0000000117C0: 0AC6C730
	v_mul_f32_e32 v100, v48, v100                              // 0000000117C4: 0AC8C930
	v_mul_f32_e32 v101, v48, v101                              // 0000000117C8: 0ACACB30
	v_mul_f32_e32 v102, v48, v102                              // 0000000117CC: 0ACCCD30
	v_mul_f32_e32 v103, v48, v103                              // 0000000117D0: 0ACECF30
	v_cvt_i32_f32_e32 v96, v96                                 // 0000000117D4: 7EC01160
	v_cvt_i32_f32_e32 v97, v97                                 // 0000000117D8: 7EC21161
	v_cvt_i32_f32_e32 v98, v98                                 // 0000000117DC: 7EC41162
	v_cvt_i32_f32_e32 v99, v99                                 // 0000000117E0: 7EC61163
	v_cvt_i32_f32_e32 v100, v100                               // 0000000117E4: 7EC81164
	v_cvt_i32_f32_e32 v101, v101                               // 0000000117E8: 7ECA1165
	v_cvt_i32_f32_e32 v102, v102                               // 0000000117EC: 7ECC1166
	v_cvt_i32_f32_e32 v103, v103                               // 0000000117F0: 7ECE1167
	v_rcp_f32_e32 v20, v48                                     // 0000000117F4: 7E284530
	v_perm_b32 v96, v97, v96, s53                              // 0000000117F8: D1ED0060 00D6C161
	v_perm_b32 v96, v98, v96, s54                              // 000000011800: D1ED0060 00DAC162
	v_perm_b32 v96, v99, v96, s55                              // 000000011808: D1ED0060 00DEC163
	v_perm_b32 v97, v101, v100, s53                            // 000000011810: D1ED0061 00D6C965
	v_perm_b32 v97, v102, v97, s54                             // 000000011818: D1ED0061 00DAC366
	v_perm_b32 v97, v103, v97, s55                             // 000000011820: D1ED0061 00DEC367
	ds_write_b32 v10, v96 offset:25088                         // 000000011828: D81A6200 0000600A
	ds_write_b32 v10, v97 offset:26112                         // 000000011830: D81A6600 0000610A
	s_waitcnt lgkmcnt(0)                                       // 000000011838: BF8CC07F
	s_barrier                                                  // 00000001183C: BF8A0000
	ds_read_b64 v[96:97], v9 offset:25088                      // 000000011840: D8EC6200 60000009
	ds_read_b64 v[98:99], v9 offset:25216                      // 000000011848: D8EC6280 62000009
	ds_read_b64 v[100:101], v9 offset:26112                    // 000000011850: D8EC6600 64000009
	ds_read_b64 v[102:103], v9 offset:26240                    // 000000011858: D8EC6680 66000009
	v_mov_b32_e32 v224, 0                                      // 000000011860: 7FC00280
	v_mov_b32_e32 v225, 0                                      // 000000011864: 7FC20280
	v_mov_b32_e32 v226, 0                                      // 000000011868: 7FC40280
	v_mov_b32_e32 v227, 0                                      // 00000001186C: 7FC60280
	v_mov_b32_e32 v228, 0                                      // 000000011870: 7FC80280
	v_mov_b32_e32 v229, 0                                      // 000000011874: 7FCA0280
	v_mov_b32_e32 v230, 0                                      // 000000011878: 7FCC0280
	v_mov_b32_e32 v231, 0                                      // 00000001187C: 7FCE0280
	v_mov_b32_e32 v192, 0                                      // 000000011880: 7F800280
	v_mov_b32_e32 v193, 0                                      // 000000011884: 7F820280
	v_mov_b32_e32 v194, 0                                      // 000000011888: 7F840280
	v_mov_b32_e32 v195, 0                                      // 00000001188C: 7F860280
	v_mov_b32_e32 v196, 0                                      // 000000011890: 7F880280
	v_mov_b32_e32 v197, 0                                      // 000000011894: 7F8A0280
	v_mov_b32_e32 v198, 0                                      // 000000011898: 7F8C0280
	v_mov_b32_e32 v199, 0                                      // 00000001189C: 7F8E0280
	s_waitcnt vmcnt(8) lgkmcnt(0)                              // 0000000118A0: BF8C0078
	s_barrier                                                  // 0000000118A4: BF8A0000
	s_cmp_lt_u32 s73, 16                                       // 0000000118A8: BF0A9049
	s_cbranch_scc1 label_5E33                                  // 0000000118AC: BF852087
	s_cmp_lt_i32 s7, 2                                         // 0000000118B0: BF048207
	s_cbranch_scc0 label_4DF2                                  // 0000000118B4: BF841044

00000000000118b8 <label_3DAE>:
	s_waitcnt vmcnt(8) lgkmcnt(0)                              // 0000000118B8: BF8C0078
	v_mul_u32_u24_dpp v64, v17, v54 row_newbcast:0 row_mask:0xf bank_mask:0xf// 0000000118BC: 10806CFA FF015011
	v_mul_u32_u24_dpp v65, v17, v54 row_newbcast:4 row_mask:0xf bank_mask:0xf// 0000000118C4: 10826CFA FF015411
	v_mul_u32_u24_dpp v66, v17, v54 row_newbcast:8 row_mask:0xf bank_mask:0xf// 0000000118CC: 10846CFA FF015811
	v_mul_u32_u24_dpp v67, v17, v54 row_newbcast:12 row_mask:0xf bank_mask:0xf// 0000000118D4: 10866CFA FF015C11
	v_add_u32_e32 v26, v64, v5                                 // 0000000118DC: 68340B40
	v_add_u32_e32 v27, v65, v5                                 // 0000000118E0: 68360B41
	v_add_u32_e32 v28, v66, v5                                 // 0000000118E4: 68380B42
	v_add_u32_e32 v29, v67, v5                                 // 0000000118E8: 683A0B43
	v_mul_u32_u24_dpp v64, v17, v63 quad_perm:[0,0,0,0] row_mask:0xf bank_mask:0xf// 0000000118EC: 10807EFA FF000011
	v_add_u32_e32 v3, v64, v59                                 // 0000000118F4: 68067740
	v_mul_u32_u24_dpp v64, v17, v63 quad_perm:[0,0,0,0] row_mask:0xf bank_mask:0xf// 0000000118F8: 10807EFA FF000011
	v_add_u32_e32 v56, v64, v60                                // 000000011900: 68707940
	v_mfma_i32_16x16x32_i8 v[112:115], a[0:1], v[80:81], 0     // 000000011904: D3D70070 0A02A100
	v_mfma_i32_16x16x32_i8 v[112:115], a[2:3], v[82:83], v[112:115]// 00000001190C: D3D70070 0DC2A502
	buffer_load_dwordx4 a[32:35], v26, s[16:19], 0 offen       // 000000011914: E05C1000 8084201A
	v_mfma_i32_16x16x32_i8 v[112:115], a[4:5], v[84:85], v[112:115]// 00000001191C: D3D70070 0DC2A904
	v_mfma_i32_16x16x32_i8 v[112:115], a[6:7], v[86:87], v[112:115]// 000000011924: D3D70070 0DC2AD06
	buffer_load_dword v16, v1, s[24:27], 0 offen               // 00000001192C: E0501000 80061001
	v_mfma_i32_16x16x32_i8 v[116:119], a[8:9], v[80:81], 0     // 000000011934: D3D70074 0A02A108
	v_mfma_i32_16x16x32_i8 v[116:119], a[10:11], v[82:83], v[116:119]// 00000001193C: D3D70074 0DD2A50A
	buffer_load_dwordx4 a[36:39], v26, s[16:19], 0 offen offset:1024// 000000011944: E05C1400 8084241A
	v_mfma_i32_16x16x32_i8 v[116:119], a[12:13], v[84:85], v[116:119]// 00000001194C: D3D70074 0DD2A90C
	v_mfma_i32_16x16x32_i8 v[116:119], a[14:15], v[86:87], v[116:119]// 000000011954: D3D70074 0DD2AD0E
	v_mfma_i32_16x16x32_i8 v[120:123], a[16:17], v[80:81], 0   // 00000001195C: D3D70078 0A02A110
	v_mfma_i32_16x16x32_i8 v[120:123], a[18:19], v[82:83], v[120:123]// 000000011964: D3D70078 0DE2A512
	buffer_load_dwordx4 a[40:43], v27, s[16:19], 0 offen       // 00000001196C: E05C1000 8084281B
	v_mfma_i32_16x16x32_i8 v[120:123], a[20:21], v[84:85], v[120:123]// 000000011974: D3D70078 0DE2A914
	v_mfma_i32_16x16x32_i8 v[120:123], a[22:23], v[86:87], v[120:123]// 00000001197C: D3D70078 0DE2AD16
	v_mfma_i32_16x16x32_i8 v[124:127], a[24:25], v[80:81], 0   // 000000011984: D3D7007C 0A02A118
	v_mfma_i32_16x16x32_i8 v[124:127], a[26:27], v[82:83], v[124:127]// 00000001198C: D3D7007C 0DF2A51A
	buffer_load_dwordx4 a[44:47], v27, s[16:19], 0 offen offset:1024// 000000011994: E05C1400 80842C1B
	v_mfma_i32_16x16x32_i8 v[124:127], a[28:29], v[84:85], v[124:127]// 00000001199C: D3D7007C 0DF2A91C
	v_mfma_i32_16x16x32_i8 v[124:127], a[30:31], v[86:87], v[124:127]// 0000000119A4: D3D7007C 0DF2AD1E
	v_mfma_i32_16x16x32_i8 v[128:131], a[0:1], v[88:89], 0     // 0000000119AC: D3D70080 0A02B100
	v_mfma_i32_16x16x32_i8 v[128:131], a[2:3], v[90:91], v[128:131]// 0000000119B4: D3D70080 0E02B502
	v_mfma_i32_16x16x32_i8 v[128:131], a[4:5], v[92:93], v[128:131]// 0000000119BC: D3D70080 0E02B904
	v_mfma_i32_16x16x32_i8 v[128:131], a[6:7], v[94:95], v[128:131]// 0000000119C4: D3D70080 0E02BD06
	v_mfma_i32_16x16x32_i8 v[132:135], a[8:9], v[88:89], 0     // 0000000119CC: D3D70084 0A02B108
	v_mfma_i32_16x16x32_i8 v[132:135], a[10:11], v[90:91], v[132:135]// 0000000119D4: D3D70084 0E12B50A
	v_mfma_i32_16x16x32_i8 v[132:135], a[12:13], v[92:93], v[132:135]// 0000000119DC: D3D70084 0E12B90C
	v_mfma_i32_16x16x32_i8 v[132:135], a[14:15], v[94:95], v[132:135]// 0000000119E4: D3D70084 0E12BD0E
	v_mfma_i32_16x16x32_i8 v[136:139], a[16:17], v[88:89], 0   // 0000000119EC: D3D70088 0A02B110
	v_mfma_i32_16x16x32_i8 v[136:139], a[18:19], v[90:91], v[136:139]// 0000000119F4: D3D70088 0E22B512
	v_mfma_i32_16x16x32_i8 v[136:139], a[20:21], v[92:93], v[136:139]// 0000000119FC: D3D70088 0E22B914
	v_mfma_i32_16x16x32_i8 v[136:139], a[22:23], v[94:95], v[136:139]// 000000011A04: D3D70088 0E22BD16
	v_mfma_i32_16x16x32_i8 v[140:143], a[24:25], v[88:89], 0   // 000000011A0C: D3D7008C 0A02B118
	v_mfma_i32_16x16x32_i8 v[140:143], a[26:27], v[90:91], v[140:143]// 000000011A14: D3D7008C 0E32B51A
	v_mfma_i32_16x16x32_i8 v[140:143], a[28:29], v[92:93], v[140:143]// 000000011A1C: D3D7008C 0E32B91C
	v_mfma_i32_16x16x32_i8 v[140:143], a[30:31], v[94:95], v[140:143]// 000000011A24: D3D7008C 0E32BD1E
	v_mfma_i32_16x16x32_i8 v[144:147], a[0:1], v[96:97], 0     // 000000011A2C: D3D70090 0A02C100
	v_mfma_i32_16x16x32_i8 v[144:147], a[2:3], v[98:99], v[144:147]// 000000011A34: D3D70090 0E42C502
	v_mfma_i32_16x16x32_i8 v[144:147], a[4:5], v[100:101], v[144:147]// 000000011A3C: D3D70090 0E42C904
	v_mfma_i32_16x16x32_i8 v[144:147], a[6:7], v[102:103], v[144:147]// 000000011A44: D3D70090 0E42CD06
	v_mfma_i32_16x16x32_i8 v[148:151], a[8:9], v[96:97], 0     // 000000011A4C: D3D70094 0A02C108
	v_mfma_i32_16x16x32_i8 v[148:151], a[10:11], v[98:99], v[148:151]// 000000011A54: D3D70094 0E52C50A
	v_mfma_i32_16x16x32_i8 v[148:151], a[12:13], v[100:101], v[148:151]// 000000011A5C: D3D70094 0E52C90C
	v_mfma_i32_16x16x32_i8 v[148:151], a[14:15], v[102:103], v[148:151]// 000000011A64: D3D70094 0E52CD0E
	v_mfma_i32_16x16x32_i8 v[152:155], a[16:17], v[96:97], 0   // 000000011A6C: D3D70098 0A02C110
	v_mfma_i32_16x16x32_i8 v[152:155], a[18:19], v[98:99], v[152:155]// 000000011A74: D3D70098 0E62C512
	v_mfma_i32_16x16x32_i8 v[152:155], a[20:21], v[100:101], v[152:155]// 000000011A7C: D3D70098 0E62C914
	v_mfma_i32_16x16x32_i8 v[152:155], a[22:23], v[102:103], v[152:155]// 000000011A84: D3D70098 0E62CD16
	v_mfma_i32_16x16x32_i8 v[156:159], a[24:25], v[96:97], 0   // 000000011A8C: D3D7009C 0A02C118
	v_mfma_i32_16x16x32_i8 v[156:159], a[26:27], v[98:99], v[156:159]// 000000011A94: D3D7009C 0E72C51A
	v_mfma_i32_16x16x32_i8 v[156:159], a[28:29], v[100:101], v[156:159]// 000000011A9C: D3D7009C 0E72C91C
	v_mfma_i32_16x16x32_i8 v[156:159], a[30:31], v[102:103], v[156:159]// 000000011AA4: D3D7009C 0E72CD1E
	buffer_load_dword v43, v3, s[32:35], 0 offen               // 000000011AAC: E0501000 80082B03
	v_mov_b32_dpp v64, v42 row_shr:4 row_mask:0xf bank_mask:0xf// 000000011AB4: 7E8002FA FF01142A
	v_mov_b32_dpp v65, v42 row_shl:4 row_mask:0xf bank_mask:0xf// 000000011ABC: 7E8202FA FF01042A
	v_cndmask_b32_e64 v248, v42, v64, s[44:45]                 // 000000011AC4: D10000F8 00B2812A
	v_cndmask_b32_e64 v249, v65, v42, s[44:45]                 // 000000011ACC: D10000F9 00B25541
	v_mov_b32_dpp v64, v248 row_shr:8 row_mask:0xf bank_mask:0xf// 000000011AD4: 7E8002FA FF0118F8
	v_mov_b32_dpp v65, v248 row_shl:8 row_mask:0xf bank_mask:0xf// 000000011ADC: 7E8202FA FF0108F8
	v_mov_b32_dpp v66, v249 row_shr:8 row_mask:0xf bank_mask:0xf// 000000011AE4: 7E8402FA FF0118F9
	v_mov_b32_dpp v67, v249 row_shl:8 row_mask:0xf bank_mask:0xf// 000000011AEC: 7E8602FA FF0108F9
	v_mov_b32_e32 v68, v248                                    // 000000011AF4: 7E8803F8
	v_mov_b32_e32 v69, v249                                    // 000000011AF8: 7E8A03F9
	v_cndmask_b32_e64 v248, v68, v64, s[42:43]                 // 000000011AFC: D10000F8 00AA8144
	v_cndmask_b32_e64 v250, v68, v65, s[78:79]                 // 000000011B04: D10000FA 013A8344
	v_cndmask_b32_e64 v249, v69, v66, s[42:43]                 // 000000011B0C: D10000F9 00AA8545
	v_cndmask_b32_e64 v251, v69, v67, s[78:79]                 // 000000011B14: D10000FB 013A8745
	v_mov_b32_dpp v64, v57 row_shr:4 row_mask:0xf bank_mask:0xf// 000000011B1C: 7E8002FA FF011439
	v_mov_b32_dpp v65, v57 row_shl:4 row_mask:0xf bank_mask:0xf// 000000011B24: 7E8202FA FF010439
	v_cndmask_b32_e64 v252, v57, v64, s[44:45]                 // 000000011B2C: D10000FC 00B28139
	v_cndmask_b32_e64 v253, v65, v57, s[44:45]                 // 000000011B34: D10000FD 00B27341
	v_mov_b32_dpp v64, v252 row_shr:8 row_mask:0xf bank_mask:0xf// 000000011B3C: 7E8002FA FF0118FC
	v_mov_b32_dpp v65, v252 row_shl:8 row_mask:0xf bank_mask:0xf// 000000011B44: 7E8202FA FF0108FC
	v_mov_b32_dpp v66, v253 row_shr:8 row_mask:0xf bank_mask:0xf// 000000011B4C: 7E8402FA FF0118FD
	v_mov_b32_dpp v67, v253 row_shl:8 row_mask:0xf bank_mask:0xf// 000000011B54: 7E8602FA FF0108FD
	v_mov_b32_e32 v68, v252                                    // 000000011B5C: 7E8803FC
	v_mov_b32_e32 v69, v253                                    // 000000011B60: 7E8A03FD
	v_cndmask_b32_e64 v252, v68, v64, s[42:43]                 // 000000011B64: D10000FC 00AA8144
	v_cndmask_b32_e64 v254, v68, v65, s[78:79]                 // 000000011B6C: D10000FE 013A8344
	v_cndmask_b32_e64 v253, v69, v66, s[42:43]                 // 000000011B74: D10000FD 00AA8545
	v_cndmask_b32_e64 v255, v69, v67, s[78:79]                 // 000000011B7C: D10000FF 013A8745
	buffer_load_dword v58, v56, s[36:39], 0 offen              // 000000011B84: E0501000 80093A38
	v_cvt_f32_i32_e32 v112, v112                               // 000000011B8C: 7EE00B70
	v_cvt_f32_i32_e32 v113, v113                               // 000000011B90: 7EE20B71
	v_cvt_f32_i32_e32 v114, v114                               // 000000011B94: 7EE40B72
	v_cvt_f32_i32_e32 v115, v115                               // 000000011B98: 7EE60B73
	v_cvt_f32_i32_e32 v116, v116                               // 000000011B9C: 7EE80B74
	v_cvt_f32_i32_e32 v117, v117                               // 000000011BA0: 7EEA0B75
	v_cvt_f32_i32_e32 v118, v118                               // 000000011BA4: 7EEC0B76
	v_cvt_f32_i32_e32 v119, v119                               // 000000011BA8: 7EEE0B77
	v_cvt_f32_i32_e32 v120, v120                               // 000000011BAC: 7EF00B78
	v_cvt_f32_i32_e32 v121, v121                               // 000000011BB0: 7EF20B79
	v_cvt_f32_i32_e32 v122, v122                               // 000000011BB4: 7EF40B7A
	v_cvt_f32_i32_e32 v123, v123                               // 000000011BB8: 7EF60B7B
	v_cvt_f32_i32_e32 v124, v124                               // 000000011BBC: 7EF80B7C
	v_cvt_f32_i32_e32 v125, v125                               // 000000011BC0: 7EFA0B7D
	v_cvt_f32_i32_e32 v126, v126                               // 000000011BC4: 7EFC0B7E
	v_cvt_f32_i32_e32 v127, v127                               // 000000011BC8: 7EFE0B7F
	v_mul_f32_e32 v112, v18, v112                              // 000000011BCC: 0AE0E112
	v_mul_f32_e32 v113, v18, v113                              // 000000011BD0: 0AE2E312
	v_mul_f32_e32 v114, v18, v114                              // 000000011BD4: 0AE4E512
	v_mul_f32_e32 v115, v18, v115                              // 000000011BD8: 0AE6E712
	v_mul_f32_e32 v116, v18, v116                              // 000000011BDC: 0AE8E912
	v_mul_f32_e32 v117, v18, v117                              // 000000011BE0: 0AEAEB12
	v_mul_f32_e32 v118, v18, v118                              // 000000011BE4: 0AECED12
	v_mul_f32_e32 v119, v18, v119                              // 000000011BE8: 0AEEEF12
	v_mul_f32_e32 v120, v18, v120                              // 000000011BEC: 0AF0F112
	v_mul_f32_e32 v121, v18, v121                              // 000000011BF0: 0AF2F312
	v_mul_f32_e32 v122, v18, v122                              // 000000011BF4: 0AF4F512
	v_mul_f32_e32 v123, v18, v123                              // 000000011BF8: 0AF6F712
	v_mul_f32_e32 v124, v18, v124                              // 000000011BFC: 0AF8F912
	v_mul_f32_e32 v125, v18, v125                              // 000000011C00: 0AFAFB12
	v_mul_f32_e32 v126, v18, v126                              // 000000011C04: 0AFCFD12
	v_mul_f32_e32 v127, v18, v127                              // 000000011C08: 0AFEFF12
	buffer_load_dwordx4 a[48:51], v28, s[16:19], 0 offen       // 000000011C0C: E05C1000 8084301C
	v_mul_f32_dpp v112, v248, v112 quad_perm:[0,0,0,0] row_mask:0xf bank_mask:0xf// 000000011C14: 0AE0E0FA FF0000F8
	v_mul_f32_dpp v113, v248, v113 quad_perm:[1,1,1,1] row_mask:0xf bank_mask:0xf// 000000011C1C: 0AE2E2FA FF0055F8
	v_mul_f32_dpp v114, v248, v114 quad_perm:[2,2,2,2] row_mask:0xf bank_mask:0xf// 000000011C24: 0AE4E4FA FF00AAF8
	v_mul_f32_dpp v115, v248, v115 quad_perm:[3,3,3,3] row_mask:0xf bank_mask:0xf// 000000011C2C: 0AE6E6FA FF00FFF8
	v_mul_f32_dpp v116, v249, v116 quad_perm:[0,0,0,0] row_mask:0xf bank_mask:0xf// 000000011C34: 0AE8E8FA FF0000F9
	v_mul_f32_dpp v117, v249, v117 quad_perm:[1,1,1,1] row_mask:0xf bank_mask:0xf// 000000011C3C: 0AEAEAFA FF0055F9
	v_mul_f32_dpp v118, v249, v118 quad_perm:[2,2,2,2] row_mask:0xf bank_mask:0xf// 000000011C44: 0AECECFA FF00AAF9
	v_mul_f32_dpp v119, v249, v119 quad_perm:[3,3,3,3] row_mask:0xf bank_mask:0xf// 000000011C4C: 0AEEEEFA FF00FFF9
	v_mul_f32_dpp v120, v250, v120 quad_perm:[0,0,0,0] row_mask:0xf bank_mask:0xf// 000000011C54: 0AF0F0FA FF0000FA
	v_mul_f32_dpp v121, v250, v121 quad_perm:[1,1,1,1] row_mask:0xf bank_mask:0xf// 000000011C5C: 0AF2F2FA FF0055FA
	v_mul_f32_dpp v122, v250, v122 quad_perm:[2,2,2,2] row_mask:0xf bank_mask:0xf// 000000011C64: 0AF4F4FA FF00AAFA
	v_mul_f32_dpp v123, v250, v123 quad_perm:[3,3,3,3] row_mask:0xf bank_mask:0xf// 000000011C6C: 0AF6F6FA FF00FFFA
	v_mul_f32_dpp v124, v251, v124 quad_perm:[0,0,0,0] row_mask:0xf bank_mask:0xf// 000000011C74: 0AF8F8FA FF0000FB
	v_mul_f32_dpp v125, v251, v125 quad_perm:[1,1,1,1] row_mask:0xf bank_mask:0xf// 000000011C7C: 0AFAFAFA FF0055FB
	v_mul_f32_dpp v126, v251, v126 quad_perm:[2,2,2,2] row_mask:0xf bank_mask:0xf// 000000011C84: 0AFCFCFA FF00AAFB
	v_mul_f32_dpp v127, v251, v127 quad_perm:[3,3,3,3] row_mask:0xf bank_mask:0xf// 000000011C8C: 0AFEFEFA FF00FFFB
	buffer_load_dwordx4 a[52:55], v28, s[16:19], 0 offen offset:1024// 000000011C94: E05C1400 8084341C
	s_cmp_le_i32 s90, s89                                      // 000000011C9C: BF05595A
	s_cbranch_scc1 label_3F1A                                  // 000000011CA0: BF850071
	v_mov_b32_e32 v66, 0xff800000                              // 000000011CA4: 7E8402FF FF800000
	s_mov_b32 s60, s90                                         // 000000011CAC: BEBC005A
	s_add_u32 s61, s89, 0xff                                   // 000000011CB0: 803DFF59 000000FF
	v_mov_b32_e32 v64, s61                                     // 000000011CB8: 7E80023D
	v_lshrrev_b32_e32 v240, 4, v0                              // 000000011CBC: 21E00084
	v_mul_i32_i24_e32 v240, 4, v240                            // 000000011CC0: 0DE1E084
	v_add_u32_e32 v240, s60, v240                              // 000000011CC4: 69E1E03C
	s_mov_b32 s61, 0                                           // 000000011CC8: BEBD0080
	s_mul_i32 s60, 16, s7                                      // 000000011CCC: 923C0790
	v_sub_u32_e64 v240, v240, s61                              // 000000011CD0: D13500F0 00007BF0
	v_add_u32_e32 v240, s60, v240                              // 000000011CD8: 69E1E03C
	v_add_u32_e32 v241, 1, v240                                // 000000011CDC: 69E3E081
	v_add_u32_e32 v242, 2, v240                                // 000000011CE0: 69E5E082
	v_add_u32_e32 v243, 3, v240                                // 000000011CE4: 69E7E083
	v_cmp_le_u32_e64 s[40:41], v240, v64                       // 000000011CE8: D0CB0028 000281F0
	v_add_u32_e32 v240, 64, v240                               // 000000011CF0: 69E1E0C0
	s_nop 0                                                    // 000000011CF4: BF800000
	v_cndmask_b32_e64 v112, v66, v112, s[40:41]                // 000000011CF8: D1000070 00A2E142
	v_cmp_le_u32_e64 s[40:41], v241, v64                       // 000000011D00: D0CB0028 000281F1
	v_add_u32_e32 v241, 64, v241                               // 000000011D08: 69E3E2C0
	s_nop 0                                                    // 000000011D0C: BF800000
	v_cndmask_b32_e64 v113, v66, v113, s[40:41]                // 000000011D10: D1000071 00A2E342
	v_cmp_le_u32_e64 s[40:41], v242, v64                       // 000000011D18: D0CB0028 000281F2
	v_add_u32_e32 v242, 64, v242                               // 000000011D20: 69E5E4C0
	s_nop 0                                                    // 000000011D24: BF800000
	v_cndmask_b32_e64 v114, v66, v114, s[40:41]                // 000000011D28: D1000072 00A2E542
	v_cmp_le_u32_e64 s[40:41], v243, v64                       // 000000011D30: D0CB0028 000281F3
	v_add_u32_e32 v243, 64, v243                               // 000000011D38: 69E7E6C0
	s_nop 0                                                    // 000000011D3C: BF800000
	v_cndmask_b32_e64 v115, v66, v115, s[40:41]                // 000000011D40: D1000073 00A2E742
	v_cmp_le_u32_e64 s[40:41], v240, v64                       // 000000011D48: D0CB0028 000281F0
	v_add_u32_e32 v240, 64, v240                               // 000000011D50: 69E1E0C0
	s_nop 0                                                    // 000000011D54: BF800000
	v_cndmask_b32_e64 v116, v66, v116, s[40:41]                // 000000011D58: D1000074 00A2E942
	v_cmp_le_u32_e64 s[40:41], v241, v64                       // 000000011D60: D0CB0028 000281F1
	v_add_u32_e32 v241, 64, v241                               // 000000011D68: 69E3E2C0
	s_nop 0                                                    // 000000011D6C: BF800000
	v_cndmask_b32_e64 v117, v66, v117, s[40:41]                // 000000011D70: D1000075 00A2EB42
	v_cmp_le_u32_e64 s[40:41], v242, v64                       // 000000011D78: D0CB0028 000281F2
	v_add_u32_e32 v242, 64, v242                               // 000000011D80: 69E5E4C0
	s_nop 0                                                    // 000000011D84: BF800000
	v_cndmask_b32_e64 v118, v66, v118, s[40:41]                // 000000011D88: D1000076 00A2ED42
	v_cmp_le_u32_e64 s[40:41], v243, v64                       // 000000011D90: D0CB0028 000281F3
	v_add_u32_e32 v243, 64, v243                               // 000000011D98: 69E7E6C0
	s_nop 0                                                    // 000000011D9C: BF800000
	v_cndmask_b32_e64 v119, v66, v119, s[40:41]                // 000000011DA0: D1000077 00A2EF42
	v_cmp_le_u32_e64 s[40:41], v240, v64                       // 000000011DA8: D0CB0028 000281F0
	v_add_u32_e32 v240, 64, v240                               // 000000011DB0: 69E1E0C0
	s_nop 0                                                    // 000000011DB4: BF800000
	v_cndmask_b32_e64 v120, v66, v120, s[40:41]                // 000000011DB8: D1000078 00A2F142
	v_cmp_le_u32_e64 s[40:41], v241, v64                       // 000000011DC0: D0CB0028 000281F1
	v_add_u32_e32 v241, 64, v241                               // 000000011DC8: 69E3E2C0
	s_nop 0                                                    // 000000011DCC: BF800000
	v_cndmask_b32_e64 v121, v66, v121, s[40:41]                // 000000011DD0: D1000079 00A2F342
	v_cmp_le_u32_e64 s[40:41], v242, v64                       // 000000011DD8: D0CB0028 000281F2
	v_add_u32_e32 v242, 64, v242                               // 000000011DE0: 69E5E4C0
	s_nop 0                                                    // 000000011DE4: BF800000
	v_cndmask_b32_e64 v122, v66, v122, s[40:41]                // 000000011DE8: D100007A 00A2F542
	v_cmp_le_u32_e64 s[40:41], v243, v64                       // 000000011DF0: D0CB0028 000281F3
	v_add_u32_e32 v243, 64, v243                               // 000000011DF8: 69E7E6C0
	s_nop 0                                                    // 000000011DFC: BF800000
	v_cndmask_b32_e64 v123, v66, v123, s[40:41]                // 000000011E00: D100007B 00A2F742
	v_cmp_le_u32_e64 s[40:41], v240, v64                       // 000000011E08: D0CB0028 000281F0
	v_add_u32_e32 v240, 64, v240                               // 000000011E10: 69E1E0C0
	s_nop 0                                                    // 000000011E14: BF800000
	v_cndmask_b32_e64 v124, v66, v124, s[40:41]                // 000000011E18: D100007C 00A2F942
	v_cmp_le_u32_e64 s[40:41], v241, v64                       // 000000011E20: D0CB0028 000281F1
	v_add_u32_e32 v241, 64, v241                               // 000000011E28: 69E3E2C0
	s_nop 0                                                    // 000000011E2C: BF800000
	v_cndmask_b32_e64 v125, v66, v125, s[40:41]                // 000000011E30: D100007D 00A2FB42
	v_cmp_le_u32_e64 s[40:41], v242, v64                       // 000000011E38: D0CB0028 000281F2
	v_add_u32_e32 v242, 64, v242                               // 000000011E40: 69E5E4C0
	s_nop 0                                                    // 000000011E44: BF800000
	v_cndmask_b32_e64 v126, v66, v126, s[40:41]                // 000000011E48: D100007E 00A2FD42
	v_cmp_le_u32_e64 s[40:41], v243, v64                       // 000000011E50: D0CB0028 000281F3
	v_add_u32_e32 v243, 64, v243                               // 000000011E58: 69E7E6C0
	s_nop 0                                                    // 000000011E5C: BF800000
	v_cndmask_b32_e64 v127, v66, v127, s[40:41]                // 000000011E60: D100007F 00A2FF42

0000000000011e68 <label_3F1A>:
	v_mov_b32_e32 v48, v112                                    // 000000011E68: 7E600370
	v_max3_f32 v48, v112, v113, v48                            // 000000011E6C: D1D30030 04C2E370
	v_max3_f32 v48, v114, v115, v48                            // 000000011E74: D1D30030 04C2E772
	v_max3_f32 v48, v116, v117, v48                            // 000000011E7C: D1D30030 04C2EB74
	v_max3_f32 v48, v118, v119, v48                            // 000000011E84: D1D30030 04C2EF76
	v_max3_f32 v48, v120, v121, v48                            // 000000011E8C: D1D30030 04C2F378
	v_max3_f32 v48, v122, v123, v48                            // 000000011E94: D1D30030 04C2F77A
	v_max3_f32 v48, v124, v125, v48                            // 000000011E9C: D1D30030 04C2FB7C
	v_max3_f32 v48, v126, v127, v48                            // 000000011EA4: D1D30030 04C2FF7E
	ds_write_b32 v8, v48 offset:16896                          // 000000011EAC: D81A4200 00003008
	buffer_load_dwordx4 a[56:59], v29, s[16:19], 0 offen       // 000000011EB4: E05C1000 8084381D
	v_mul_u32_u24_dpp v64, v17, v54 row_newbcast:1 row_mask:0xf bank_mask:0xf// 000000011EBC: 10806CFA FF015111
	v_mul_u32_u24_dpp v65, v17, v54 row_newbcast:5 row_mask:0xf bank_mask:0xf// 000000011EC4: 10826CFA FF015511
	v_mul_u32_u24_dpp v66, v17, v54 row_newbcast:9 row_mask:0xf bank_mask:0xf// 000000011ECC: 10846CFA FF015911
	v_mul_u32_u24_dpp v67, v17, v54 row_newbcast:13 row_mask:0xf bank_mask:0xf// 000000011ED4: 10866CFA FF015D11
	v_add_u32_e32 v34, v64, v6                                 // 000000011EDC: 68440D40
	v_add_u32_e32 v35, v65, v6                                 // 000000011EE0: 68460D41
	v_add_u32_e32 v36, v66, v6                                 // 000000011EE4: 68480D42
	v_add_u32_e32 v37, v67, v6                                 // 000000011EE8: 684A0D43
	v_mul_f32_e32 v208, v49, v208                              // 000000011EEC: 0BA1A131
	v_mul_f32_e32 v209, v49, v209                              // 000000011EF0: 0BA3A331
	v_mul_f32_e32 v210, v49, v210                              // 000000011EF4: 0BA5A531
	v_mul_f32_e32 v211, v49, v211                              // 000000011EF8: 0BA7A731
	v_mul_f32_e32 v212, v49, v212                              // 000000011EFC: 0BA9A931
	v_mul_f32_e32 v213, v49, v213                              // 000000011F00: 0BABAB31
	v_mul_f32_e32 v214, v49, v214                              // 000000011F04: 0BADAD31
	v_mul_f32_e32 v215, v49, v215                              // 000000011F08: 0BAFAF31
	s_waitcnt lgkmcnt(0)                                       // 000000011F0C: BF8CC07F
	s_barrier                                                  // 000000011F10: BF8A0000
	ds_read_b32 v64, v7 offset:16896                           // 000000011F14: D86C4200 40000007
	ds_read_b32 v65, v7 offset:16960                           // 000000011F1C: D86C4240 41000007
	ds_read_b32 v66, v7 offset:17024                           // 000000011F24: D86C4280 42000007
	ds_read_b32 v67, v7 offset:17088                           // 000000011F2C: D86C42C0 43000007
	ds_read_b32 v68, v7 offset:17152                           // 000000011F34: D86C4300 44000007
	ds_read_b32 v69, v7 offset:17216                           // 000000011F3C: D86C4340 45000007
	ds_read_b32 v70, v7 offset:17280                           // 000000011F44: D86C4380 46000007
	ds_read_b32 v71, v7 offset:17344                           // 000000011F4C: D86C43C0 47000007
	ds_read_b32 v72, v7 offset:17408                           // 000000011F54: D86C4400 48000007
	ds_read_b32 v73, v7 offset:17472                           // 000000011F5C: D86C4440 49000007
	ds_read_b32 v74, v7 offset:17536                           // 000000011F64: D86C4480 4A000007
	ds_read_b32 v75, v7 offset:17600                           // 000000011F6C: D86C44C0 4B000007
	ds_read_b32 v76, v7 offset:17664                           // 000000011F74: D86C4500 4C000007
	ds_read_b32 v77, v7 offset:17728                           // 000000011F7C: D86C4540 4D000007
	ds_read_b32 v78, v7 offset:17792                           // 000000011F84: D86C4580 4E000007
	ds_read_b32 v79, v7 offset:17856                           // 000000011F8C: D86C45C0 4F000007
	buffer_load_dwordx4 a[60:63], v29, s[16:19], 0 offen offset:1024// 000000011F94: E05C1400 80843C1D
	v_cvt_f32_i32_e32 v176, v176                               // 000000011F9C: 7F600BB0
	v_cvt_f32_i32_e32 v177, v177                               // 000000011FA0: 7F620BB1
	v_cvt_f32_i32_e32 v178, v178                               // 000000011FA4: 7F640BB2
	v_cvt_f32_i32_e32 v179, v179                               // 000000011FA8: 7F660BB3
	v_cvt_f32_i32_e32 v180, v180                               // 000000011FAC: 7F680BB4
	v_cvt_f32_i32_e32 v181, v181                               // 000000011FB0: 7F6A0BB5
	v_cvt_f32_i32_e32 v182, v182                               // 000000011FB4: 7F6C0BB6
	v_cvt_f32_i32_e32 v183, v183                               // 000000011FB8: 7F6E0BB7
	v_mul_f32_e32 v176, v44, v176                              // 000000011FBC: 0B61612C
	v_mul_f32_e32 v177, v44, v177                              // 000000011FC0: 0B63632C
	v_mul_f32_e32 v178, v44, v178                              // 000000011FC4: 0B65652C
	v_mul_f32_e32 v179, v44, v179                              // 000000011FC8: 0B67672C
	v_mul_f32_e32 v180, v44, v180                              // 000000011FCC: 0B69692C
	v_mul_f32_e32 v181, v44, v181                              // 000000011FD0: 0B6B6B2C
	v_mul_f32_e32 v182, v44, v182                              // 000000011FD4: 0B6D6D2C
	v_mul_f32_e32 v183, v44, v183                              // 000000011FD8: 0B6F6F2C
	s_waitcnt lgkmcnt(0)                                       // 000000011FDC: BF8CC07F
	v_max3_f32 v48, v64, v65, v48                              // 000000011FE0: D1D30030 04C28340
	v_max3_f32 v48, v66, v67, v48                              // 000000011FE8: D1D30030 04C28742
	v_max3_f32 v48, v68, v69, v48                              // 000000011FF0: D1D30030 04C28B44
	v_max3_f32 v48, v70, v71, v48                              // 000000011FF8: D1D30030 04C28F46
	v_max3_f32 v48, v72, v73, v48                              // 000000012000: D1D30030 04C29348
	v_max3_f32 v48, v74, v75, v48                              // 000000012008: D1D30030 04C2974A
	v_max3_f32 v48, v76, v77, v48                              // 000000012010: D1D30030 04C29B4C
	v_max3_f32 v48, v78, v79, v48                              // 000000012018: D1D30030 04C29F4E
	buffer_load_dwordx4 a[96:99], v34, s[20:23], 0 offen       // 000000012020: E05C1000 80856022
	v_mov_b32_e32 v64, 0xff800000                              // 000000012028: 7E8002FF FF800000
	v_cmp_eq_u32_e64 s[40:41], v64, v11                        // 000000012030: D0CA0028 00021740
	s_nop 1                                                    // 000000012038: BF800001
	v_max_f32_e32 v15, v48, v11                                // 00000001203C: 161E1730
	v_mul_f32_e32 v53, s64, v15                                // 000000012040: 0A6A1E40
	v_fma_f32 v112, v112, s64, -v53                            // 000000012044: D1CB0070 84D48170
	v_fma_f32 v113, v113, s64, -v53                            // 00000001204C: D1CB0071 84D48171
	v_fma_f32 v114, v114, s64, -v53                            // 000000012054: D1CB0072 84D48172
	v_fma_f32 v115, v115, s64, -v53                            // 00000001205C: D1CB0073 84D48173
	v_fma_f32 v116, v116, s64, -v53                            // 000000012064: D1CB0074 84D48174
	v_fma_f32 v117, v117, s64, -v53                            // 00000001206C: D1CB0075 84D48175
	v_fma_f32 v118, v118, s64, -v53                            // 000000012074: D1CB0076 84D48176
	v_fma_f32 v119, v119, s64, -v53                            // 00000001207C: D1CB0077 84D48177
	v_fma_f32 v120, v120, s64, -v53                            // 000000012084: D1CB0078 84D48178
	v_fma_f32 v121, v121, s64, -v53                            // 00000001208C: D1CB0079 84D48179
	v_fma_f32 v122, v122, s64, -v53                            // 000000012094: D1CB007A 84D4817A
	v_fma_f32 v123, v123, s64, -v53                            // 00000001209C: D1CB007B 84D4817B
	v_fma_f32 v124, v124, s64, -v53                            // 0000000120A4: D1CB007C 84D4817C
	v_fma_f32 v125, v125, s64, -v53                            // 0000000120AC: D1CB007D 84D4817D
	v_fma_f32 v126, v126, s64, -v53                            // 0000000120B4: D1CB007E 84D4817E
	v_fma_f32 v127, v127, s64, -v53                            // 0000000120BC: D1CB007F 84D4817F
	buffer_load_dwordx4 a[100:103], v35, s[20:23], 0 offen     // 0000000120C4: E05C1000 80856423
	v_exp_f32_e32 v112, v112                                   // 0000000120CC: 7EE04170
	v_exp_f32_e32 v113, v113                                   // 0000000120D0: 7EE24171
	v_exp_f32_e32 v114, v114                                   // 0000000120D4: 7EE44172
	v_exp_f32_e32 v115, v115                                   // 0000000120D8: 7EE64173
	v_exp_f32_e32 v116, v116                                   // 0000000120DC: 7EE84174
	v_exp_f32_e32 v117, v117                                   // 0000000120E0: 7EEA4175
	v_exp_f32_e32 v118, v118                                   // 0000000120E4: 7EEC4176
	v_exp_f32_e32 v119, v119                                   // 0000000120E8: 7EEE4177
	v_exp_f32_e32 v120, v120                                   // 0000000120EC: 7EF04178
	v_exp_f32_e32 v121, v121                                   // 0000000120F0: 7EF24179
	v_exp_f32_e32 v122, v122                                   // 0000000120F4: 7EF4417A
	v_exp_f32_e32 v123, v123                                   // 0000000120F8: 7EF6417B
	v_exp_f32_e32 v124, v124                                   // 0000000120FC: 7EF8417C
	v_exp_f32_e32 v125, v125                                   // 000000012100: 7EFA417D
	v_exp_f32_e32 v126, v126                                   // 000000012104: 7EFC417E
	v_exp_f32_e32 v127, v127                                   // 000000012108: 7EFE417F
	buffer_load_dwordx4 a[104:107], v36, s[20:23], 0 offen     // 00000001210C: E05C1000 80856824
	v_mul_f32_dpp v240, v252, v112 quad_perm:[0,0,0,0] row_mask:0xf bank_mask:0xf// 000000012114: 0BE0E0FA FF0000FC
	v_mul_f32_dpp v241, v252, v113 quad_perm:[1,1,1,1] row_mask:0xf bank_mask:0xf// 00000001211C: 0BE2E2FA FF0055FC
	v_mul_f32_dpp v242, v252, v114 quad_perm:[2,2,2,2] row_mask:0xf bank_mask:0xf// 000000012124: 0BE4E4FA FF00AAFC
	v_mul_f32_dpp v243, v252, v115 quad_perm:[3,3,3,3] row_mask:0xf bank_mask:0xf// 00000001212C: 0BE6E6FA FF00FFFC
	v_mul_f32_dpp v244, v253, v116 quad_perm:[0,0,0,0] row_mask:0xf bank_mask:0xf// 000000012134: 0BE8E8FA FF0000FD
	v_mul_f32_dpp v245, v253, v117 quad_perm:[1,1,1,1] row_mask:0xf bank_mask:0xf// 00000001213C: 0BEAEAFA FF0055FD
	v_mul_f32_dpp v246, v253, v118 quad_perm:[2,2,2,2] row_mask:0xf bank_mask:0xf// 000000012144: 0BECECFA FF00AAFD
	v_mul_f32_dpp v247, v253, v119 quad_perm:[3,3,3,3] row_mask:0xf bank_mask:0xf// 00000001214C: 0BEEEEFA FF00FFFD
	v_mul_f32_dpp v248, v254, v120 quad_perm:[0,0,0,0] row_mask:0xf bank_mask:0xf// 000000012154: 0BF0F0FA FF0000FE
	v_mul_f32_dpp v249, v254, v121 quad_perm:[1,1,1,1] row_mask:0xf bank_mask:0xf// 00000001215C: 0BF2F2FA FF0055FE
	v_mul_f32_dpp v250, v254, v122 quad_perm:[2,2,2,2] row_mask:0xf bank_mask:0xf// 000000012164: 0BF4F4FA FF00AAFE
	v_mul_f32_dpp v251, v254, v123 quad_perm:[3,3,3,3] row_mask:0xf bank_mask:0xf// 00000001216C: 0BF6F6FA FF00FFFE
	v_mul_f32_dpp v252, v255, v124 quad_perm:[0,0,0,0] row_mask:0xf bank_mask:0xf// 000000012174: 0BF8F8FA FF0000FF
	v_mul_f32_dpp v253, v255, v125 quad_perm:[1,1,1,1] row_mask:0xf bank_mask:0xf// 00000001217C: 0BFAFAFA FF0055FF
	v_mul_f32_dpp v254, v255, v126 quad_perm:[2,2,2,2] row_mask:0xf bank_mask:0xf// 000000012184: 0BFCFCFA FF00AAFF
	v_mul_f32_dpp v255, v255, v127 quad_perm:[3,3,3,3] row_mask:0xf bank_mask:0xf// 00000001218C: 0BFEFEFA FF00FFFF
	v_mov_b32_e32 v48, 0x358637bd                              // 000000012194: 7E6002FF 358637BD
	v_max3_f32 v48, |v240|, |v241|, v48                        // 00000001219C: D1D30330 04C3E3F0
	v_max3_f32 v48, |v242|, |v243|, v48                        // 0000000121A4: D1D30330 04C3E7F2
	v_max3_f32 v48, |v244|, |v245|, v48                        // 0000000121AC: D1D30330 04C3EBF4
	v_max3_f32 v48, |v246|, |v247|, v48                        // 0000000121B4: D1D30330 04C3EFF6
	v_max3_f32 v48, |v248|, |v249|, v48                        // 0000000121BC: D1D30330 04C3F3F8
	v_max3_f32 v48, |v250|, |v251|, v48                        // 0000000121C4: D1D30330 04C3F7FA
	v_max3_f32 v48, |v252|, |v253|, v48                        // 0000000121CC: D1D30330 04C3FBFC
	v_max3_f32 v48, |v254|, |v255|, v48                        // 0000000121D4: D1D30330 04C3FFFE
	buffer_load_dwordx4 a[108:111], v37, s[20:23], 0 offen     // 0000000121DC: E05C1000 80856C25
	ds_write_b32 v8, v48 offset:20992                          // 0000000121E4: D81A5200 00003008
	v_sub_f32_e32 v49, v11, v15                                // 0000000121EC: 04621F0B
	v_cndmask_b32_e64 v49, v49, 0, s[40:41]                    // 0000000121F0: D1000031 00A10131
	v_mov_b32_e32 v11, v15                                     // 0000000121F8: 7E16030F
	v_mul_f32_e32 v49, s64, v49                                // 0000000121FC: 0A626240
	v_exp_f32_e32 v49, v49                                     // 000000012200: 7E624131
	s_waitcnt lgkmcnt(0)                                       // 000000012204: BF8CC07F
	s_barrier                                                  // 000000012208: BF8A0000
	ds_read_b32 v64, v7 offset:20992                           // 00000001220C: D86C5200 40000007
	ds_read_b32 v65, v7 offset:21056                           // 000000012214: D86C5240 41000007
	ds_read_b32 v66, v7 offset:21120                           // 00000001221C: D86C5280 42000007
	ds_read_b32 v67, v7 offset:21184                           // 000000012224: D86C52C0 43000007
	ds_read_b32 v68, v7 offset:21248                           // 00000001222C: D86C5300 44000007
	ds_read_b32 v69, v7 offset:21312                           // 000000012234: D86C5340 45000007
	ds_read_b32 v70, v7 offset:21376                           // 00000001223C: D86C5380 46000007
	ds_read_b32 v71, v7 offset:21440                           // 000000012244: D86C53C0 47000007
	ds_read_b32 v72, v7 offset:21504                           // 00000001224C: D86C5400 48000007
	ds_read_b32 v73, v7 offset:21568                           // 000000012254: D86C5440 49000007
	ds_read_b32 v74, v7 offset:21632                           // 00000001225C: D86C5480 4A000007
	ds_read_b32 v75, v7 offset:21696                           // 000000012264: D86C54C0 4B000007
	ds_read_b32 v76, v7 offset:21760                           // 00000001226C: D86C5500 4C000007
	ds_read_b32 v77, v7 offset:21824                           // 000000012274: D86C5540 4D000007
	ds_read_b32 v78, v7 offset:21888                           // 00000001227C: D86C5580 4E000007
	ds_read_b32 v79, v7 offset:21952                           // 000000012284: D86C55C0 4F000007
	v_mul_f32_e32 v38, v49, v38                                // 00000001228C: 0A4C4D31
	v_mov_b32_e32 v15, v112                                    // 000000012290: 7E1E0370
	v_add_f32_e32 v15, v113, v15                               // 000000012294: 021E1F71
	v_add_f32_e32 v15, v114, v15                               // 000000012298: 021E1F72
	v_add_f32_e32 v15, v115, v15                               // 00000001229C: 021E1F73
	v_add_f32_e32 v15, v116, v15                               // 0000000122A0: 021E1F74
	v_add_f32_e32 v15, v117, v15                               // 0000000122A4: 021E1F75
	v_add_f32_e32 v15, v118, v15                               // 0000000122A8: 021E1F76
	v_add_f32_e32 v15, v119, v15                               // 0000000122AC: 021E1F77
	v_add_f32_e32 v15, v120, v15                               // 0000000122B0: 021E1F78
	v_add_f32_e32 v15, v121, v15                               // 0000000122B4: 021E1F79
	v_add_f32_e32 v15, v122, v15                               // 0000000122B8: 021E1F7A
	v_add_f32_e32 v15, v123, v15                               // 0000000122BC: 021E1F7B
	v_add_f32_e32 v15, v124, v15                               // 0000000122C0: 021E1F7C
	v_add_f32_e32 v15, v125, v15                               // 0000000122C4: 021E1F7D
	v_add_f32_e32 v15, v126, v15                               // 0000000122C8: 021E1F7E
	v_add_f32_e32 v15, v127, v15                               // 0000000122CC: 021E1F7F
	v_add_f32_e32 v38, v15, v38                                // 0000000122D0: 024C4D0F
	s_waitcnt lgkmcnt(0)                                       // 0000000122D4: BF8CC07F
	v_max3_f32 v48, |v64|, |v65|, v48                          // 0000000122D8: D1D30330 04C28340
	v_max3_f32 v48, |v66|, |v67|, v48                          // 0000000122E0: D1D30330 04C28742
	v_max3_f32 v48, |v68|, |v69|, v48                          // 0000000122E8: D1D30330 04C28B44
	v_max3_f32 v48, |v70|, |v71|, v48                          // 0000000122F0: D1D30330 04C28F46
	v_max3_f32 v48, |v72|, |v73|, v48                          // 0000000122F8: D1D30330 04C29348
	v_max3_f32 v48, |v74|, |v75|, v48                          // 000000012300: D1D30330 04C2974A
	v_max3_f32 v48, |v76|, |v77|, v48                          // 000000012308: D1D30330 04C29B4C
	v_max3_f32 v48, |v78|, |v79|, v48                          // 000000012310: D1D30330 04C29F4E
	s_nop 2                                                    // 000000012318: BF800002
	v_rcp_f32_e32 v48, v48                                     // 00000001231C: 7E604530
	s_nop 1                                                    // 000000012320: BF800001
	v_mul_f32_e32 v48, 0x42fe0000, v48                         // 000000012324: 0A6060FF 42FE0000
	v_mul_f32_e32 v112, v48, v240                              // 00000001232C: 0AE1E130
	v_mul_f32_e32 v113, v48, v241                              // 000000012330: 0AE3E330
	v_mul_f32_e32 v114, v48, v242                              // 000000012334: 0AE5E530
	v_mul_f32_e32 v115, v48, v243                              // 000000012338: 0AE7E730
	v_mul_f32_e32 v116, v48, v244                              // 00000001233C: 0AE9E930
	v_mul_f32_e32 v117, v48, v245                              // 000000012340: 0AEBEB30
	v_mul_f32_e32 v118, v48, v246                              // 000000012344: 0AEDED30
	v_mul_f32_e32 v119, v48, v247                              // 000000012348: 0AEFEF30
	v_mul_f32_e32 v120, v48, v248                              // 00000001234C: 0AF1F130
	v_mul_f32_e32 v121, v48, v249                              // 000000012350: 0AF3F330
	v_mul_f32_e32 v122, v48, v250                              // 000000012354: 0AF5F530
	v_mul_f32_e32 v123, v48, v251                              // 000000012358: 0AF7F730
	v_mul_f32_e32 v124, v48, v252                              // 00000001235C: 0AF9F930
	v_mul_f32_e32 v125, v48, v253                              // 000000012360: 0AFBFB30
	v_mul_f32_e32 v126, v48, v254                              // 000000012364: 0AFDFD30
	v_mul_f32_e32 v127, v48, v255                              // 000000012368: 0AFFFF30
	v_cvt_i32_f32_e32 v112, v112                               // 00000001236C: 7EE01170
	v_cvt_i32_f32_e32 v113, v113                               // 000000012370: 7EE21171
	v_cvt_i32_f32_e32 v114, v114                               // 000000012374: 7EE41172
	v_cvt_i32_f32_e32 v115, v115                               // 000000012378: 7EE61173
	v_cvt_i32_f32_e32 v116, v116                               // 00000001237C: 7EE81174
	v_cvt_i32_f32_e32 v117, v117                               // 000000012380: 7EEA1175
	v_cvt_i32_f32_e32 v118, v118                               // 000000012384: 7EEC1176
	v_cvt_i32_f32_e32 v119, v119                               // 000000012388: 7EEE1177
	v_cvt_i32_f32_e32 v120, v120                               // 00000001238C: 7EF01178
	v_cvt_i32_f32_e32 v121, v121                               // 000000012390: 7EF21179
	v_cvt_i32_f32_e32 v122, v122                               // 000000012394: 7EF4117A
	v_cvt_i32_f32_e32 v123, v123                               // 000000012398: 7EF6117B
	v_cvt_i32_f32_e32 v124, v124                               // 00000001239C: 7EF8117C
	v_cvt_i32_f32_e32 v125, v125                               // 0000000123A0: 7EFA117D
	v_cvt_i32_f32_e32 v126, v126                               // 0000000123A4: 7EFC117E
	v_cvt_i32_f32_e32 v127, v127                               // 0000000123A8: 7EFE117F
	v_perm_b32 v112, v113, v112, s53                           // 0000000123AC: D1ED0070 00D6E171
	v_perm_b32 v112, v114, v112, s54                           // 0000000123B4: D1ED0070 00DAE172
	v_perm_b32 v112, v115, v112, s55                           // 0000000123BC: D1ED0070 00DEE173
	v_perm_b32 v113, v117, v116, s53                           // 0000000123C4: D1ED0071 00D6E975
	v_perm_b32 v113, v118, v113, s54                           // 0000000123CC: D1ED0071 00DAE376
	v_perm_b32 v113, v119, v113, s55                           // 0000000123D4: D1ED0071 00DEE377
	v_perm_b32 v114, v121, v120, s53                           // 0000000123DC: D1ED0072 00D6F179
	v_perm_b32 v114, v122, v114, s54                           // 0000000123E4: D1ED0072 00DAE57A
	v_perm_b32 v114, v123, v114, s55                           // 0000000123EC: D1ED0072 00DEE57B
	v_perm_b32 v115, v125, v124, s53                           // 0000000123F4: D1ED0073 00D6F97D
	v_perm_b32 v115, v126, v115, s54                           // 0000000123FC: D1ED0073 00DAE77E
	v_perm_b32 v115, v127, v115, s55                           // 000000012404: D1ED0073 00DEE77F
	ds_write_b32 v10, v112 offset:25088                        // 00000001240C: D81A6200 0000700A
	ds_write_b32 v10, v113 offset:26112                        // 000000012414: D81A6600 0000710A
	ds_write_b32 v10, v114 offset:27136                        // 00000001241C: D81A6A00 0000720A
	ds_write_b32 v10, v115 offset:28160                        // 000000012424: D81A6E00 0000730A
	v_add_f32_e32 v208, v208, v176                             // 00000001242C: 03A161D0
	v_add_f32_e32 v209, v209, v177                             // 000000012430: 03A363D1
	v_add_f32_e32 v210, v210, v178                             // 000000012434: 03A565D2
	v_add_f32_e32 v211, v211, v179                             // 000000012438: 03A767D3
	v_add_f32_e32 v212, v212, v180                             // 00000001243C: 03A969D4
	v_add_f32_e32 v213, v213, v181                             // 000000012440: 03AB6BD5
	v_add_f32_e32 v214, v214, v182                             // 000000012444: 03AD6DD6
	v_add_f32_e32 v215, v215, v183                             // 000000012448: 03AF6FD7
	v_rcp_f32_e32 v44, v48                                     // 00000001244C: 7E584530
	s_waitcnt lgkmcnt(0)                                       // 000000012450: BF8CC07F
	s_barrier                                                  // 000000012454: BF8A0000
	ds_read_b64 v[112:113], v9 offset:25088                    // 000000012458: D8EC6200 70000009
	ds_read_b64 v[114:115], v9 offset:25216                    // 000000012460: D8EC6280 72000009
	ds_read_b64 v[116:117], v9 offset:26112                    // 000000012468: D8EC6600 74000009
	ds_read_b64 v[118:119], v9 offset:26240                    // 000000012470: D8EC6680 76000009
	ds_read_b64 v[120:121], v9 offset:27136                    // 000000012478: D8EC6A00 78000009
	ds_read_b64 v[122:123], v9 offset:27264                    // 000000012480: D8EC6A80 7A000009
	ds_read_b64 v[124:125], v9 offset:28160                    // 000000012488: D8EC6E00 7C000009
	ds_read_b64 v[126:127], v9 offset:28288                    // 000000012490: D8EC6E80 7E000009
	v_mov_b32_dpp v64, v42 row_shr:4 row_mask:0xf bank_mask:0xf// 000000012498: 7E8002FA FF01142A
	v_mov_b32_dpp v65, v42 row_shl:4 row_mask:0xf bank_mask:0xf// 0000000124A0: 7E8202FA FF01042A
	v_cndmask_b32_e64 v248, v42, v64, s[44:45]                 // 0000000124A8: D10000F8 00B2812A
	v_cndmask_b32_e64 v249, v65, v42, s[44:45]                 // 0000000124B0: D10000F9 00B25541
	v_mov_b32_dpp v64, v248 row_shr:8 row_mask:0xf bank_mask:0xf// 0000000124B8: 7E8002FA FF0118F8
	v_mov_b32_dpp v65, v248 row_shl:8 row_mask:0xf bank_mask:0xf// 0000000124C0: 7E8202FA FF0108F8
	v_mov_b32_dpp v66, v249 row_shr:8 row_mask:0xf bank_mask:0xf// 0000000124C8: 7E8402FA FF0118F9
	v_mov_b32_dpp v67, v249 row_shl:8 row_mask:0xf bank_mask:0xf// 0000000124D0: 7E8602FA FF0108F9
	v_mov_b32_e32 v68, v248                                    // 0000000124D8: 7E8803F8
	v_mov_b32_e32 v69, v249                                    // 0000000124DC: 7E8A03F9
	v_cndmask_b32_e64 v248, v68, v64, s[42:43]                 // 0000000124E0: D10000F8 00AA8144
	v_cndmask_b32_e64 v250, v68, v65, s[78:79]                 // 0000000124E8: D10000FA 013A8344
	v_cndmask_b32_e64 v249, v69, v66, s[42:43]                 // 0000000124F0: D10000F9 00AA8545
	v_cndmask_b32_e64 v251, v69, v67, s[78:79]                 // 0000000124F8: D10000FB 013A8745
	v_mov_b32_dpp v64, v57 row_shr:4 row_mask:0xf bank_mask:0xf// 000000012500: 7E8002FA FF011439
	v_mov_b32_dpp v65, v57 row_shl:4 row_mask:0xf bank_mask:0xf// 000000012508: 7E8202FA FF010439
	v_cndmask_b32_e64 v252, v57, v64, s[44:45]                 // 000000012510: D10000FC 00B28139
	v_cndmask_b32_e64 v253, v65, v57, s[44:45]                 // 000000012518: D10000FD 00B27341
	v_mov_b32_dpp v64, v252 row_shr:8 row_mask:0xf bank_mask:0xf// 000000012520: 7E8002FA FF0118FC
	v_mov_b32_dpp v65, v252 row_shl:8 row_mask:0xf bank_mask:0xf// 000000012528: 7E8202FA FF0108FC
	v_mov_b32_dpp v66, v253 row_shr:8 row_mask:0xf bank_mask:0xf// 000000012530: 7E8402FA FF0118FD
	v_mov_b32_dpp v67, v253 row_shl:8 row_mask:0xf bank_mask:0xf// 000000012538: 7E8602FA FF0108FD
	v_mov_b32_e32 v68, v252                                    // 000000012540: 7E8803FC
	v_mov_b32_e32 v69, v253                                    // 000000012544: 7E8A03FD
	v_cndmask_b32_e64 v252, v68, v64, s[42:43]                 // 000000012548: D10000FC 00AA8144
	v_cndmask_b32_e64 v254, v68, v65, s[78:79]                 // 000000012550: D10000FE 013A8344
	v_cndmask_b32_e64 v253, v69, v66, s[42:43]                 // 000000012558: D10000FD 00AA8545
	v_cndmask_b32_e64 v255, v69, v67, s[78:79]                 // 000000012560: D10000FF 013A8745
	v_cvt_f32_i32_e32 v128, v128                               // 000000012568: 7F000B80
	v_cvt_f32_i32_e32 v129, v129                               // 00000001256C: 7F020B81
	v_cvt_f32_i32_e32 v130, v130                               // 000000012570: 7F040B82
	v_cvt_f32_i32_e32 v131, v131                               // 000000012574: 7F060B83
	v_cvt_f32_i32_e32 v132, v132                               // 000000012578: 7F080B84
	v_cvt_f32_i32_e32 v133, v133                               // 00000001257C: 7F0A0B85
	v_cvt_f32_i32_e32 v134, v134                               // 000000012580: 7F0C0B86
	v_cvt_f32_i32_e32 v135, v135                               // 000000012584: 7F0E0B87
	v_cvt_f32_i32_e32 v136, v136                               // 000000012588: 7F100B88
	v_cvt_f32_i32_e32 v137, v137                               // 00000001258C: 7F120B89
	v_cvt_f32_i32_e32 v138, v138                               // 000000012590: 7F140B8A
	v_cvt_f32_i32_e32 v139, v139                               // 000000012594: 7F160B8B
	v_cvt_f32_i32_e32 v140, v140                               // 000000012598: 7F180B8C
	v_cvt_f32_i32_e32 v141, v141                               // 00000001259C: 7F1A0B8D
	v_cvt_f32_i32_e32 v142, v142                               // 0000000125A0: 7F1C0B8E
	v_cvt_f32_i32_e32 v143, v143                               // 0000000125A4: 7F1E0B8F
	v_mul_f32_e32 v128, v19, v128                              // 0000000125A8: 0B010113
	v_mul_f32_e32 v129, v19, v129                              // 0000000125AC: 0B030313
	v_mul_f32_e32 v130, v19, v130                              // 0000000125B0: 0B050513
	v_mul_f32_e32 v131, v19, v131                              // 0000000125B4: 0B070713
	v_mul_f32_e32 v132, v19, v132                              // 0000000125B8: 0B090913
	v_mul_f32_e32 v133, v19, v133                              // 0000000125BC: 0B0B0B13
	v_mul_f32_e32 v134, v19, v134                              // 0000000125C0: 0B0D0D13
	v_mul_f32_e32 v135, v19, v135                              // 0000000125C4: 0B0F0F13
	v_mul_f32_e32 v136, v19, v136                              // 0000000125C8: 0B111113
	v_mul_f32_e32 v137, v19, v137                              // 0000000125CC: 0B131313
	v_mul_f32_e32 v138, v19, v138                              // 0000000125D0: 0B151513
	v_mul_f32_e32 v139, v19, v139                              // 0000000125D4: 0B171713
	v_mul_f32_e32 v140, v19, v140                              // 0000000125D8: 0B191913
	v_mul_f32_e32 v141, v19, v141                              // 0000000125DC: 0B1B1B13
	v_mul_f32_e32 v142, v19, v142                              // 0000000125E0: 0B1D1D13
	v_mul_f32_e32 v143, v19, v143                              // 0000000125E4: 0B1F1F13
	v_mul_f32_dpp v128, v248, v128 quad_perm:[0,0,0,0] row_mask:0xf bank_mask:0xf// 0000000125E8: 0B0100FA FF0000F8
	v_mul_f32_dpp v129, v248, v129 quad_perm:[1,1,1,1] row_mask:0xf bank_mask:0xf// 0000000125F0: 0B0302FA FF0055F8
	v_mul_f32_dpp v130, v248, v130 quad_perm:[2,2,2,2] row_mask:0xf bank_mask:0xf// 0000000125F8: 0B0504FA FF00AAF8
	v_mul_f32_dpp v131, v248, v131 quad_perm:[3,3,3,3] row_mask:0xf bank_mask:0xf// 000000012600: 0B0706FA FF00FFF8
	v_mul_f32_dpp v132, v249, v132 quad_perm:[0,0,0,0] row_mask:0xf bank_mask:0xf// 000000012608: 0B0908FA FF0000F9
	v_mul_f32_dpp v133, v249, v133 quad_perm:[1,1,1,1] row_mask:0xf bank_mask:0xf// 000000012610: 0B0B0AFA FF0055F9
	v_mul_f32_dpp v134, v249, v134 quad_perm:[2,2,2,2] row_mask:0xf bank_mask:0xf// 000000012618: 0B0D0CFA FF00AAF9
	v_mul_f32_dpp v135, v249, v135 quad_perm:[3,3,3,3] row_mask:0xf bank_mask:0xf// 000000012620: 0B0F0EFA FF00FFF9
	v_mul_f32_dpp v136, v250, v136 quad_perm:[0,0,0,0] row_mask:0xf bank_mask:0xf// 000000012628: 0B1110FA FF0000FA
	v_mul_f32_dpp v137, v250, v137 quad_perm:[1,1,1,1] row_mask:0xf bank_mask:0xf// 000000012630: 0B1312FA FF0055FA
	v_mul_f32_dpp v138, v250, v138 quad_perm:[2,2,2,2] row_mask:0xf bank_mask:0xf// 000000012638: 0B1514FA FF00AAFA
	v_mul_f32_dpp v139, v250, v139 quad_perm:[3,3,3,3] row_mask:0xf bank_mask:0xf// 000000012640: 0B1716FA FF00FFFA
	v_mul_f32_dpp v140, v251, v140 quad_perm:[0,0,0,0] row_mask:0xf bank_mask:0xf// 000000012648: 0B1918FA FF0000FB
	v_mul_f32_dpp v141, v251, v141 quad_perm:[1,1,1,1] row_mask:0xf bank_mask:0xf// 000000012650: 0B1B1AFA FF0055FB
	v_mul_f32_dpp v142, v251, v142 quad_perm:[2,2,2,2] row_mask:0xf bank_mask:0xf// 000000012658: 0B1D1CFA FF00AAFB
	v_mul_f32_dpp v143, v251, v143 quad_perm:[3,3,3,3] row_mask:0xf bank_mask:0xf// 000000012660: 0B1F1EFA FF00FFFB
	s_cmp_le_i32 s90, s89                                      // 000000012668: BF05595A
	s_cbranch_scc1 label_418D                                  // 00000001266C: BF850071
	v_mov_b32_e32 v66, 0xff800000                              // 000000012670: 7E8402FF FF800000
	s_mov_b32 s60, s90                                         // 000000012678: BEBC005A
	s_add_u32 s61, s89, 0xff                                   // 00000001267C: 803DFF59 000000FF
	v_mov_b32_e32 v64, s61                                     // 000000012684: 7E80023D
	v_lshrrev_b32_e32 v240, 4, v0                              // 000000012688: 21E00084
	v_mul_i32_i24_e32 v240, 4, v240                            // 00000001268C: 0DE1E084
	v_add_u32_e32 v240, s60, v240                              // 000000012690: 69E1E03C
	s_mov_b32 s61, 1                                           // 000000012694: BEBD0081
	s_mul_i32 s60, 16, s7                                      // 000000012698: 923C0790
	v_sub_u32_e64 v240, v240, s61                              // 00000001269C: D13500F0 00007BF0
	v_add_u32_e32 v240, s60, v240                              // 0000000126A4: 69E1E03C
	v_add_u32_e32 v241, 1, v240                                // 0000000126A8: 69E3E081
	v_add_u32_e32 v242, 2, v240                                // 0000000126AC: 69E5E082
	v_add_u32_e32 v243, 3, v240                                // 0000000126B0: 69E7E083
	v_cmp_le_u32_e64 s[40:41], v240, v64                       // 0000000126B4: D0CB0028 000281F0
	v_add_u32_e32 v240, 64, v240                               // 0000000126BC: 69E1E0C0
	s_nop 0                                                    // 0000000126C0: BF800000
	v_cndmask_b32_e64 v128, v66, v128, s[40:41]                // 0000000126C4: D1000080 00A30142
	v_cmp_le_u32_e64 s[40:41], v241, v64                       // 0000000126CC: D0CB0028 000281F1
	v_add_u32_e32 v241, 64, v241                               // 0000000126D4: 69E3E2C0
	s_nop 0                                                    // 0000000126D8: BF800000
	v_cndmask_b32_e64 v129, v66, v129, s[40:41]                // 0000000126DC: D1000081 00A30342
	v_cmp_le_u32_e64 s[40:41], v242, v64                       // 0000000126E4: D0CB0028 000281F2
	v_add_u32_e32 v242, 64, v242                               // 0000000126EC: 69E5E4C0
	s_nop 0                                                    // 0000000126F0: BF800000
	v_cndmask_b32_e64 v130, v66, v130, s[40:41]                // 0000000126F4: D1000082 00A30542
	v_cmp_le_u32_e64 s[40:41], v243, v64                       // 0000000126FC: D0CB0028 000281F3
	v_add_u32_e32 v243, 64, v243                               // 000000012704: 69E7E6C0
	s_nop 0                                                    // 000000012708: BF800000
	v_cndmask_b32_e64 v131, v66, v131, s[40:41]                // 00000001270C: D1000083 00A30742
	v_cmp_le_u32_e64 s[40:41], v240, v64                       // 000000012714: D0CB0028 000281F0
	v_add_u32_e32 v240, 64, v240                               // 00000001271C: 69E1E0C0
	s_nop 0                                                    // 000000012720: BF800000
	v_cndmask_b32_e64 v132, v66, v132, s[40:41]                // 000000012724: D1000084 00A30942
	v_cmp_le_u32_e64 s[40:41], v241, v64                       // 00000001272C: D0CB0028 000281F1
	v_add_u32_e32 v241, 64, v241                               // 000000012734: 69E3E2C0
	s_nop 0                                                    // 000000012738: BF800000
	v_cndmask_b32_e64 v133, v66, v133, s[40:41]                // 00000001273C: D1000085 00A30B42
	v_cmp_le_u32_e64 s[40:41], v242, v64                       // 000000012744: D0CB0028 000281F2
	v_add_u32_e32 v242, 64, v242                               // 00000001274C: 69E5E4C0
	s_nop 0                                                    // 000000012750: BF800000
	v_cndmask_b32_e64 v134, v66, v134, s[40:41]                // 000000012754: D1000086 00A30D42
	v_cmp_le_u32_e64 s[40:41], v243, v64                       // 00000001275C: D0CB0028 000281F3
	v_add_u32_e32 v243, 64, v243                               // 000000012764: 69E7E6C0
	s_nop 0                                                    // 000000012768: BF800000
	v_cndmask_b32_e64 v135, v66, v135, s[40:41]                // 00000001276C: D1000087 00A30F42
	v_cmp_le_u32_e64 s[40:41], v240, v64                       // 000000012774: D0CB0028 000281F0
	v_add_u32_e32 v240, 64, v240                               // 00000001277C: 69E1E0C0
	s_nop 0                                                    // 000000012780: BF800000
	v_cndmask_b32_e64 v136, v66, v136, s[40:41]                // 000000012784: D1000088 00A31142
	v_cmp_le_u32_e64 s[40:41], v241, v64                       // 00000001278C: D0CB0028 000281F1
	v_add_u32_e32 v241, 64, v241                               // 000000012794: 69E3E2C0
	s_nop 0                                                    // 000000012798: BF800000
	v_cndmask_b32_e64 v137, v66, v137, s[40:41]                // 00000001279C: D1000089 00A31342
	v_cmp_le_u32_e64 s[40:41], v242, v64                       // 0000000127A4: D0CB0028 000281F2
	v_add_u32_e32 v242, 64, v242                               // 0000000127AC: 69E5E4C0
	s_nop 0                                                    // 0000000127B0: BF800000
	v_cndmask_b32_e64 v138, v66, v138, s[40:41]                // 0000000127B4: D100008A 00A31542
	v_cmp_le_u32_e64 s[40:41], v243, v64                       // 0000000127BC: D0CB0028 000281F3
	v_add_u32_e32 v243, 64, v243                               // 0000000127C4: 69E7E6C0
	s_nop 0                                                    // 0000000127C8: BF800000
	v_cndmask_b32_e64 v139, v66, v139, s[40:41]                // 0000000127CC: D100008B 00A31742
	v_cmp_le_u32_e64 s[40:41], v240, v64                       // 0000000127D4: D0CB0028 000281F0
	v_add_u32_e32 v240, 64, v240                               // 0000000127DC: 69E1E0C0
	s_nop 0                                                    // 0000000127E0: BF800000
	v_cndmask_b32_e64 v140, v66, v140, s[40:41]                // 0000000127E4: D100008C 00A31942
	v_cmp_le_u32_e64 s[40:41], v241, v64                       // 0000000127EC: D0CB0028 000281F1
	v_add_u32_e32 v241, 64, v241                               // 0000000127F4: 69E3E2C0
	s_nop 0                                                    // 0000000127F8: BF800000
	v_cndmask_b32_e64 v141, v66, v141, s[40:41]                // 0000000127FC: D100008D 00A31B42
	v_cmp_le_u32_e64 s[40:41], v242, v64                       // 000000012804: D0CB0028 000281F2
	v_add_u32_e32 v242, 64, v242                               // 00000001280C: 69E5E4C0
	s_nop 0                                                    // 000000012810: BF800000
	v_cndmask_b32_e64 v142, v66, v142, s[40:41]                // 000000012814: D100008E 00A31D42
	v_cmp_le_u32_e64 s[40:41], v243, v64                       // 00000001281C: D0CB0028 000281F3
	v_add_u32_e32 v243, 64, v243                               // 000000012824: 69E7E6C0
	s_nop 0                                                    // 000000012828: BF800000
	v_cndmask_b32_e64 v143, v66, v143, s[40:41]                // 00000001282C: D100008F 00A31F42

0000000000012834 <label_418D>:
	v_mov_b32_e32 v48, v128                                    // 000000012834: 7E600380
	v_max3_f32 v48, v128, v129, v48                            // 000000012838: D1D30030 04C30380
	v_max3_f32 v48, v130, v131, v48                            // 000000012840: D1D30030 04C30782
	v_max3_f32 v48, v132, v133, v48                            // 000000012848: D1D30030 04C30B84
	v_max3_f32 v48, v134, v135, v48                            // 000000012850: D1D30030 04C30F86
	v_max3_f32 v48, v136, v137, v48                            // 000000012858: D1D30030 04C31388
	v_max3_f32 v48, v138, v139, v48                            // 000000012860: D1D30030 04C3178A
	v_max3_f32 v48, v140, v141, v48                            // 000000012868: D1D30030 04C31B8C
	v_max3_f32 v48, v142, v143, v48                            // 000000012870: D1D30030 04C31F8E
	ds_write_b32 v8, v48 offset:16896                          // 000000012878: D81A4200 00003008
	v_mul_f32_e32 v216, v50, v216                              // 000000012880: 0BB1B132
	v_mul_f32_e32 v217, v50, v217                              // 000000012884: 0BB3B332
	v_mul_f32_e32 v218, v50, v218                              // 000000012888: 0BB5B532
	v_mul_f32_e32 v219, v50, v219                              // 00000001288C: 0BB7B732
	v_mul_f32_e32 v220, v50, v220                              // 000000012890: 0BB9B932
	v_mul_f32_e32 v221, v50, v221                              // 000000012894: 0BBBBB32
	v_mul_f32_e32 v222, v50, v222                              // 000000012898: 0BBDBD32
	v_mul_f32_e32 v223, v50, v223                              // 00000001289C: 0BBFBF32
	s_waitcnt lgkmcnt(0)                                       // 0000000128A0: BF8CC07F
	s_barrier                                                  // 0000000128A4: BF8A0000
	ds_read_b32 v64, v7 offset:16896                           // 0000000128A8: D86C4200 40000007
	ds_read_b32 v65, v7 offset:16960                           // 0000000128B0: D86C4240 41000007
	ds_read_b32 v66, v7 offset:17024                           // 0000000128B8: D86C4280 42000007
	ds_read_b32 v67, v7 offset:17088                           // 0000000128C0: D86C42C0 43000007
	ds_read_b32 v68, v7 offset:17152                           // 0000000128C8: D86C4300 44000007
	ds_read_b32 v69, v7 offset:17216                           // 0000000128D0: D86C4340 45000007
	ds_read_b32 v70, v7 offset:17280                           // 0000000128D8: D86C4380 46000007
	ds_read_b32 v71, v7 offset:17344                           // 0000000128E0: D86C43C0 47000007
	ds_read_b32 v72, v7 offset:17408                           // 0000000128E8: D86C4400 48000007
	ds_read_b32 v73, v7 offset:17472                           // 0000000128F0: D86C4440 49000007
	ds_read_b32 v74, v7 offset:17536                           // 0000000128F8: D86C4480 4A000007
	ds_read_b32 v75, v7 offset:17600                           // 000000012900: D86C44C0 4B000007
	ds_read_b32 v76, v7 offset:17664                           // 000000012908: D86C4500 4C000007
	ds_read_b32 v77, v7 offset:17728                           // 000000012910: D86C4540 4D000007
	ds_read_b32 v78, v7 offset:17792                           // 000000012918: D86C4580 4E000007
	ds_read_b32 v79, v7 offset:17856                           // 000000012920: D86C45C0 4F000007
	v_cvt_f32_i32_e32 v184, v184                               // 000000012928: 7F700BB8
	v_cvt_f32_i32_e32 v185, v185                               // 00000001292C: 7F720BB9
	v_cvt_f32_i32_e32 v186, v186                               // 000000012930: 7F740BBA
	v_cvt_f32_i32_e32 v187, v187                               // 000000012934: 7F760BBB
	v_cvt_f32_i32_e32 v188, v188                               // 000000012938: 7F780BBC
	v_cvt_f32_i32_e32 v189, v189                               // 00000001293C: 7F7A0BBD
	v_cvt_f32_i32_e32 v190, v190                               // 000000012940: 7F7C0BBE
	v_cvt_f32_i32_e32 v191, v191                               // 000000012944: 7F7E0BBF
	v_mul_f32_e32 v184, v45, v184                              // 000000012948: 0B71712D
	v_mul_f32_e32 v185, v45, v185                              // 00000001294C: 0B73732D
	v_mul_f32_e32 v186, v45, v186                              // 000000012950: 0B75752D
	v_mul_f32_e32 v187, v45, v187                              // 000000012954: 0B77772D
	v_mul_f32_e32 v188, v45, v188                              // 000000012958: 0B79792D
	v_mul_f32_e32 v189, v45, v189                              // 00000001295C: 0B7B7B2D
	v_mul_f32_e32 v190, v45, v190                              // 000000012960: 0B7D7D2D
	v_mul_f32_e32 v191, v45, v191                              // 000000012964: 0B7F7F2D
	s_waitcnt lgkmcnt(0)                                       // 000000012968: BF8CC07F
	v_max3_f32 v48, v64, v65, v48                              // 00000001296C: D1D30030 04C28340
	v_max3_f32 v48, v66, v67, v48                              // 000000012974: D1D30030 04C28742
	v_max3_f32 v48, v68, v69, v48                              // 00000001297C: D1D30030 04C28B44
	v_max3_f32 v48, v70, v71, v48                              // 000000012984: D1D30030 04C28F46
	v_max3_f32 v48, v72, v73, v48                              // 00000001298C: D1D30030 04C29348
	v_max3_f32 v48, v74, v75, v48                              // 000000012994: D1D30030 04C2974A
	v_max3_f32 v48, v76, v77, v48                              // 00000001299C: D1D30030 04C29B4C
	v_max3_f32 v48, v78, v79, v48                              // 0000000129A4: D1D30030 04C29F4E
	v_mov_b32_e32 v64, 0xff800000                              // 0000000129AC: 7E8002FF FF800000
	v_cmp_eq_u32_e64 s[40:41], v64, v12                        // 0000000129B4: D0CA0028 00021940
	s_nop 1                                                    // 0000000129BC: BF800001
	v_max_f32_e32 v15, v48, v12                                // 0000000129C0: 161E1930
	v_mul_f32_e32 v53, s64, v15                                // 0000000129C4: 0A6A1E40
	v_fma_f32 v128, v128, s64, -v53                            // 0000000129C8: D1CB0080 84D48180
	v_fma_f32 v129, v129, s64, -v53                            // 0000000129D0: D1CB0081 84D48181
	v_fma_f32 v130, v130, s64, -v53                            // 0000000129D8: D1CB0082 84D48182
	v_fma_f32 v131, v131, s64, -v53                            // 0000000129E0: D1CB0083 84D48183
	v_fma_f32 v132, v132, s64, -v53                            // 0000000129E8: D1CB0084 84D48184
	v_fma_f32 v133, v133, s64, -v53                            // 0000000129F0: D1CB0085 84D48185
	v_fma_f32 v134, v134, s64, -v53                            // 0000000129F8: D1CB0086 84D48186
	v_fma_f32 v135, v135, s64, -v53                            // 000000012A00: D1CB0087 84D48187
	v_fma_f32 v136, v136, s64, -v53                            // 000000012A08: D1CB0088 84D48188
	v_fma_f32 v137, v137, s64, -v53                            // 000000012A10: D1CB0089 84D48189
	v_fma_f32 v138, v138, s64, -v53                            // 000000012A18: D1CB008A 84D4818A
	v_fma_f32 v139, v139, s64, -v53                            // 000000012A20: D1CB008B 84D4818B
	v_fma_f32 v140, v140, s64, -v53                            // 000000012A28: D1CB008C 84D4818C
	v_fma_f32 v141, v141, s64, -v53                            // 000000012A30: D1CB008D 84D4818D
	v_fma_f32 v142, v142, s64, -v53                            // 000000012A38: D1CB008E 84D4818E
	v_fma_f32 v143, v143, s64, -v53                            // 000000012A40: D1CB008F 84D4818F
	v_exp_f32_e32 v128, v128                                   // 000000012A48: 7F004180
	v_exp_f32_e32 v129, v129                                   // 000000012A4C: 7F024181
	v_exp_f32_e32 v130, v130                                   // 000000012A50: 7F044182
	v_exp_f32_e32 v131, v131                                   // 000000012A54: 7F064183
	v_exp_f32_e32 v132, v132                                   // 000000012A58: 7F084184
	v_exp_f32_e32 v133, v133                                   // 000000012A5C: 7F0A4185
	v_exp_f32_e32 v134, v134                                   // 000000012A60: 7F0C4186
	v_exp_f32_e32 v135, v135                                   // 000000012A64: 7F0E4187
	v_exp_f32_e32 v136, v136                                   // 000000012A68: 7F104188
	v_exp_f32_e32 v137, v137                                   // 000000012A6C: 7F124189
	v_exp_f32_e32 v138, v138                                   // 000000012A70: 7F14418A
	v_exp_f32_e32 v139, v139                                   // 000000012A74: 7F16418B
	v_exp_f32_e32 v140, v140                                   // 000000012A78: 7F18418C
	v_exp_f32_e32 v141, v141                                   // 000000012A7C: 7F1A418D
	v_exp_f32_e32 v142, v142                                   // 000000012A80: 7F1C418E
	v_exp_f32_e32 v143, v143                                   // 000000012A84: 7F1E418F
	v_mul_f32_dpp v240, v252, v128 quad_perm:[0,0,0,0] row_mask:0xf bank_mask:0xf// 000000012A88: 0BE100FA FF0000FC
	v_mul_f32_dpp v241, v252, v129 quad_perm:[1,1,1,1] row_mask:0xf bank_mask:0xf// 000000012A90: 0BE302FA FF0055FC
	v_mul_f32_dpp v242, v252, v130 quad_perm:[2,2,2,2] row_mask:0xf bank_mask:0xf// 000000012A98: 0BE504FA FF00AAFC
	v_mul_f32_dpp v243, v252, v131 quad_perm:[3,3,3,3] row_mask:0xf bank_mask:0xf// 000000012AA0: 0BE706FA FF00FFFC
	v_mul_f32_dpp v244, v253, v132 quad_perm:[0,0,0,0] row_mask:0xf bank_mask:0xf// 000000012AA8: 0BE908FA FF0000FD
	v_mul_f32_dpp v245, v253, v133 quad_perm:[1,1,1,1] row_mask:0xf bank_mask:0xf// 000000012AB0: 0BEB0AFA FF0055FD
	v_mul_f32_dpp v246, v253, v134 quad_perm:[2,2,2,2] row_mask:0xf bank_mask:0xf// 000000012AB8: 0BED0CFA FF00AAFD
	v_mul_f32_dpp v247, v253, v135 quad_perm:[3,3,3,3] row_mask:0xf bank_mask:0xf// 000000012AC0: 0BEF0EFA FF00FFFD
	v_mul_f32_dpp v248, v254, v136 quad_perm:[0,0,0,0] row_mask:0xf bank_mask:0xf// 000000012AC8: 0BF110FA FF0000FE
	v_mul_f32_dpp v249, v254, v137 quad_perm:[1,1,1,1] row_mask:0xf bank_mask:0xf// 000000012AD0: 0BF312FA FF0055FE
	v_mul_f32_dpp v250, v254, v138 quad_perm:[2,2,2,2] row_mask:0xf bank_mask:0xf// 000000012AD8: 0BF514FA FF00AAFE
	v_mul_f32_dpp v251, v254, v139 quad_perm:[3,3,3,3] row_mask:0xf bank_mask:0xf// 000000012AE0: 0BF716FA FF00FFFE
	v_mul_f32_dpp v252, v255, v140 quad_perm:[0,0,0,0] row_mask:0xf bank_mask:0xf// 000000012AE8: 0BF918FA FF0000FF
	v_mul_f32_dpp v253, v255, v141 quad_perm:[1,1,1,1] row_mask:0xf bank_mask:0xf// 000000012AF0: 0BFB1AFA FF0055FF
	v_mul_f32_dpp v254, v255, v142 quad_perm:[2,2,2,2] row_mask:0xf bank_mask:0xf// 000000012AF8: 0BFD1CFA FF00AAFF
	v_mul_f32_dpp v255, v255, v143 quad_perm:[3,3,3,3] row_mask:0xf bank_mask:0xf// 000000012B00: 0BFF1EFA FF00FFFF
	v_mov_b32_e32 v48, 0x358637bd                              // 000000012B08: 7E6002FF 358637BD
	v_max3_f32 v48, |v240|, |v241|, v48                        // 000000012B10: D1D30330 04C3E3F0
	v_max3_f32 v48, |v242|, |v243|, v48                        // 000000012B18: D1D30330 04C3E7F2
	v_max3_f32 v48, |v244|, |v245|, v48                        // 000000012B20: D1D30330 04C3EBF4
	v_max3_f32 v48, |v246|, |v247|, v48                        // 000000012B28: D1D30330 04C3EFF6
	v_max3_f32 v48, |v248|, |v249|, v48                        // 000000012B30: D1D30330 04C3F3F8
	v_max3_f32 v48, |v250|, |v251|, v48                        // 000000012B38: D1D30330 04C3F7FA
	v_max3_f32 v48, |v252|, |v253|, v48                        // 000000012B40: D1D30330 04C3FBFC
	v_max3_f32 v48, |v254|, |v255|, v48                        // 000000012B48: D1D30330 04C3FFFE
	ds_write_b32 v8, v48 offset:20992                          // 000000012B50: D81A5200 00003008
	v_sub_f32_e32 v50, v12, v15                                // 000000012B58: 04641F0C
	v_cndmask_b32_e64 v50, v50, 0, s[40:41]                    // 000000012B5C: D1000032 00A10132
	v_mov_b32_e32 v12, v15                                     // 000000012B64: 7E18030F
	v_mul_f32_e32 v50, s64, v50                                // 000000012B68: 0A646440
	v_exp_f32_e32 v50, v50                                     // 000000012B6C: 7E644132
	s_waitcnt lgkmcnt(0)                                       // 000000012B70: BF8CC07F
	s_barrier                                                  // 000000012B74: BF8A0000
	ds_read_b32 v64, v7 offset:20992                           // 000000012B78: D86C5200 40000007
	ds_read_b32 v65, v7 offset:21056                           // 000000012B80: D86C5240 41000007
	ds_read_b32 v66, v7 offset:21120                           // 000000012B88: D86C5280 42000007
	ds_read_b32 v67, v7 offset:21184                           // 000000012B90: D86C52C0 43000007
	ds_read_b32 v68, v7 offset:21248                           // 000000012B98: D86C5300 44000007
	ds_read_b32 v69, v7 offset:21312                           // 000000012BA0: D86C5340 45000007
	ds_read_b32 v70, v7 offset:21376                           // 000000012BA8: D86C5380 46000007
	ds_read_b32 v71, v7 offset:21440                           // 000000012BB0: D86C53C0 47000007
	ds_read_b32 v72, v7 offset:21504                           // 000000012BB8: D86C5400 48000007
	ds_read_b32 v73, v7 offset:21568                           // 000000012BC0: D86C5440 49000007
	ds_read_b32 v74, v7 offset:21632                           // 000000012BC8: D86C5480 4A000007
	ds_read_b32 v75, v7 offset:21696                           // 000000012BD0: D86C54C0 4B000007
	ds_read_b32 v76, v7 offset:21760                           // 000000012BD8: D86C5500 4C000007
	ds_read_b32 v77, v7 offset:21824                           // 000000012BE0: D86C5540 4D000007
	ds_read_b32 v78, v7 offset:21888                           // 000000012BE8: D86C5580 4E000007
	ds_read_b32 v79, v7 offset:21952                           // 000000012BF0: D86C55C0 4F000007
	v_mul_f32_e32 v39, v50, v39                                // 000000012BF8: 0A4E4F32
	v_mov_b32_e32 v15, v128                                    // 000000012BFC: 7E1E0380
	v_add_f32_e32 v15, v129, v15                               // 000000012C00: 021E1F81
	v_add_f32_e32 v15, v130, v15                               // 000000012C04: 021E1F82
	v_add_f32_e32 v15, v131, v15                               // 000000012C08: 021E1F83
	v_add_f32_e32 v15, v132, v15                               // 000000012C0C: 021E1F84
	v_add_f32_e32 v15, v133, v15                               // 000000012C10: 021E1F85
	v_add_f32_e32 v15, v134, v15                               // 000000012C14: 021E1F86
	v_add_f32_e32 v15, v135, v15                               // 000000012C18: 021E1F87
	v_add_f32_e32 v15, v136, v15                               // 000000012C1C: 021E1F88
	v_add_f32_e32 v15, v137, v15                               // 000000012C20: 021E1F89
	v_add_f32_e32 v15, v138, v15                               // 000000012C24: 021E1F8A
	v_add_f32_e32 v15, v139, v15                               // 000000012C28: 021E1F8B
	v_add_f32_e32 v15, v140, v15                               // 000000012C2C: 021E1F8C
	v_add_f32_e32 v15, v141, v15                               // 000000012C30: 021E1F8D
	v_add_f32_e32 v15, v142, v15                               // 000000012C34: 021E1F8E
	v_add_f32_e32 v15, v143, v15                               // 000000012C38: 021E1F8F
	v_add_f32_e32 v39, v15, v39                                // 000000012C3C: 024E4F0F
	s_waitcnt lgkmcnt(0)                                       // 000000012C40: BF8CC07F
	v_max3_f32 v48, |v64|, |v65|, v48                          // 000000012C44: D1D30330 04C28340
	v_max3_f32 v48, |v66|, |v67|, v48                          // 000000012C4C: D1D30330 04C28742
	v_max3_f32 v48, |v68|, |v69|, v48                          // 000000012C54: D1D30330 04C28B44
	v_max3_f32 v48, |v70|, |v71|, v48                          // 000000012C5C: D1D30330 04C28F46
	v_max3_f32 v48, |v72|, |v73|, v48                          // 000000012C64: D1D30330 04C29348
	v_max3_f32 v48, |v74|, |v75|, v48                          // 000000012C6C: D1D30330 04C2974A
	v_max3_f32 v48, |v76|, |v77|, v48                          // 000000012C74: D1D30330 04C29B4C
	v_max3_f32 v48, |v78|, |v79|, v48                          // 000000012C7C: D1D30330 04C29F4E
	s_nop 2                                                    // 000000012C84: BF800002
	v_rcp_f32_e32 v48, v48                                     // 000000012C88: 7E604530
	s_nop 1                                                    // 000000012C8C: BF800001
	v_mul_f32_e32 v48, 0x42fe0000, v48                         // 000000012C90: 0A6060FF 42FE0000
	v_mul_f32_e32 v128, v48, v240                              // 000000012C98: 0B01E130
	v_mul_f32_e32 v129, v48, v241                              // 000000012C9C: 0B03E330
	v_mul_f32_e32 v130, v48, v242                              // 000000012CA0: 0B05E530
	v_mul_f32_e32 v131, v48, v243                              // 000000012CA4: 0B07E730
	v_mul_f32_e32 v132, v48, v244                              // 000000012CA8: 0B09E930
	v_mul_f32_e32 v133, v48, v245                              // 000000012CAC: 0B0BEB30
	v_mul_f32_e32 v134, v48, v246                              // 000000012CB0: 0B0DED30
	v_mul_f32_e32 v135, v48, v247                              // 000000012CB4: 0B0FEF30
	v_mul_f32_e32 v136, v48, v248                              // 000000012CB8: 0B11F130
	v_mul_f32_e32 v137, v48, v249                              // 000000012CBC: 0B13F330
	v_mul_f32_e32 v138, v48, v250                              // 000000012CC0: 0B15F530
	v_mul_f32_e32 v139, v48, v251                              // 000000012CC4: 0B17F730
	v_mul_f32_e32 v140, v48, v252                              // 000000012CC8: 0B19F930
	v_mul_f32_e32 v141, v48, v253                              // 000000012CCC: 0B1BFB30
	v_mul_f32_e32 v142, v48, v254                              // 000000012CD0: 0B1DFD30
	v_mul_f32_e32 v143, v48, v255                              // 000000012CD4: 0B1FFF30
	v_cvt_i32_f32_e32 v128, v128                               // 000000012CD8: 7F001180
	v_cvt_i32_f32_e32 v129, v129                               // 000000012CDC: 7F021181
	v_cvt_i32_f32_e32 v130, v130                               // 000000012CE0: 7F041182
	v_cvt_i32_f32_e32 v131, v131                               // 000000012CE4: 7F061183
	v_cvt_i32_f32_e32 v132, v132                               // 000000012CE8: 7F081184
	v_cvt_i32_f32_e32 v133, v133                               // 000000012CEC: 7F0A1185
	v_cvt_i32_f32_e32 v134, v134                               // 000000012CF0: 7F0C1186
	v_cvt_i32_f32_e32 v135, v135                               // 000000012CF4: 7F0E1187
	v_cvt_i32_f32_e32 v136, v136                               // 000000012CF8: 7F101188
	v_cvt_i32_f32_e32 v137, v137                               // 000000012CFC: 7F121189
	v_cvt_i32_f32_e32 v138, v138                               // 000000012D00: 7F14118A
	v_cvt_i32_f32_e32 v139, v139                               // 000000012D04: 7F16118B
	v_cvt_i32_f32_e32 v140, v140                               // 000000012D08: 7F18118C
	v_cvt_i32_f32_e32 v141, v141                               // 000000012D0C: 7F1A118D
	v_cvt_i32_f32_e32 v142, v142                               // 000000012D10: 7F1C118E
	v_cvt_i32_f32_e32 v143, v143                               // 000000012D14: 7F1E118F
	v_perm_b32 v128, v129, v128, s53                           // 000000012D18: D1ED0080 00D70181
	v_perm_b32 v128, v130, v128, s54                           // 000000012D20: D1ED0080 00DB0182
	v_perm_b32 v128, v131, v128, s55                           // 000000012D28: D1ED0080 00DF0183
	v_perm_b32 v129, v133, v132, s53                           // 000000012D30: D1ED0081 00D70985
	v_perm_b32 v129, v134, v129, s54                           // 000000012D38: D1ED0081 00DB0386
	v_perm_b32 v129, v135, v129, s55                           // 000000012D40: D1ED0081 00DF0387
	v_perm_b32 v130, v137, v136, s53                           // 000000012D48: D1ED0082 00D71189
	v_perm_b32 v130, v138, v130, s54                           // 000000012D50: D1ED0082 00DB058A
	v_perm_b32 v130, v139, v130, s55                           // 000000012D58: D1ED0082 00DF058B
	v_perm_b32 v131, v141, v140, s53                           // 000000012D60: D1ED0083 00D7198D
	v_perm_b32 v131, v142, v131, s54                           // 000000012D68: D1ED0083 00DB078E
	v_perm_b32 v131, v143, v131, s55                           // 000000012D70: D1ED0083 00DF078F
	ds_write_b32 v10, v128 offset:29184                        // 000000012D78: D81A7200 0000800A
	ds_write_b32 v10, v129 offset:30208                        // 000000012D80: D81A7600 0000810A
	ds_write_b32 v10, v130 offset:31232                        // 000000012D88: D81A7A00 0000820A
	ds_write_b32 v10, v131 offset:32256                        // 000000012D90: D81A7E00 0000830A
	v_add_f32_e32 v216, v216, v184                             // 000000012D98: 03B171D8
	v_add_f32_e32 v217, v217, v185                             // 000000012D9C: 03B373D9
	v_add_f32_e32 v218, v218, v186                             // 000000012DA0: 03B575DA
	v_add_f32_e32 v219, v219, v187                             // 000000012DA4: 03B777DB
	v_add_f32_e32 v220, v220, v188                             // 000000012DA8: 03B979DC
	v_add_f32_e32 v221, v221, v189                             // 000000012DAC: 03BB7BDD
	v_add_f32_e32 v222, v222, v190                             // 000000012DB0: 03BD7DDE
	v_add_f32_e32 v223, v223, v191                             // 000000012DB4: 03BF7FDF
	v_rcp_f32_e32 v45, v48                                     // 000000012DB8: 7E5A4530
	s_waitcnt lgkmcnt(0)                                       // 000000012DBC: BF8CC07F
	s_barrier                                                  // 000000012DC0: BF8A0000
	ds_read_b64 v[128:129], v9 offset:29184                    // 000000012DC4: D8EC7200 80000009
	ds_read_b64 v[130:131], v9 offset:29312                    // 000000012DCC: D8EC7280 82000009
	ds_read_b64 v[132:133], v9 offset:30208                    // 000000012DD4: D8EC7600 84000009
	ds_read_b64 v[134:135], v9 offset:30336                    // 000000012DDC: D8EC7680 86000009
	ds_read_b64 v[136:137], v9 offset:31232                    // 000000012DE4: D8EC7A00 88000009
	ds_read_b64 v[138:139], v9 offset:31360                    // 000000012DEC: D8EC7A80 8A000009
	ds_read_b64 v[140:141], v9 offset:32256                    // 000000012DF4: D8EC7E00 8C000009
	ds_read_b64 v[142:143], v9 offset:32384                    // 000000012DFC: D8EC7E80 8E000009
	v_mov_b32_dpp v64, v42 row_shr:4 row_mask:0xf bank_mask:0xf// 000000012E04: 7E8002FA FF01142A
	v_mov_b32_dpp v65, v42 row_shl:4 row_mask:0xf bank_mask:0xf// 000000012E0C: 7E8202FA FF01042A
	v_cndmask_b32_e64 v248, v42, v64, s[44:45]                 // 000000012E14: D10000F8 00B2812A
	v_cndmask_b32_e64 v249, v65, v42, s[44:45]                 // 000000012E1C: D10000F9 00B25541
	v_mov_b32_dpp v64, v248 row_shr:8 row_mask:0xf bank_mask:0xf// 000000012E24: 7E8002FA FF0118F8
	v_mov_b32_dpp v65, v248 row_shl:8 row_mask:0xf bank_mask:0xf// 000000012E2C: 7E8202FA FF0108F8
	v_mov_b32_dpp v66, v249 row_shr:8 row_mask:0xf bank_mask:0xf// 000000012E34: 7E8402FA FF0118F9
	v_mov_b32_dpp v67, v249 row_shl:8 row_mask:0xf bank_mask:0xf// 000000012E3C: 7E8602FA FF0108F9
	v_mov_b32_e32 v68, v248                                    // 000000012E44: 7E8803F8
	v_mov_b32_e32 v69, v249                                    // 000000012E48: 7E8A03F9
	v_cndmask_b32_e64 v248, v68, v64, s[42:43]                 // 000000012E4C: D10000F8 00AA8144
	v_cndmask_b32_e64 v250, v68, v65, s[78:79]                 // 000000012E54: D10000FA 013A8344
	v_cndmask_b32_e64 v249, v69, v66, s[42:43]                 // 000000012E5C: D10000F9 00AA8545
	v_cndmask_b32_e64 v251, v69, v67, s[78:79]                 // 000000012E64: D10000FB 013A8745
	v_mov_b32_dpp v64, v57 row_shr:4 row_mask:0xf bank_mask:0xf// 000000012E6C: 7E8002FA FF011439
	v_mov_b32_dpp v65, v57 row_shl:4 row_mask:0xf bank_mask:0xf// 000000012E74: 7E8202FA FF010439
	v_cndmask_b32_e64 v252, v57, v64, s[44:45]                 // 000000012E7C: D10000FC 00B28139
	v_cndmask_b32_e64 v253, v65, v57, s[44:45]                 // 000000012E84: D10000FD 00B27341
	v_mov_b32_dpp v64, v252 row_shr:8 row_mask:0xf bank_mask:0xf// 000000012E8C: 7E8002FA FF0118FC
	v_mov_b32_dpp v65, v252 row_shl:8 row_mask:0xf bank_mask:0xf// 000000012E94: 7E8202FA FF0108FC
	v_mov_b32_dpp v66, v253 row_shr:8 row_mask:0xf bank_mask:0xf// 000000012E9C: 7E8402FA FF0118FD
	v_mov_b32_dpp v67, v253 row_shl:8 row_mask:0xf bank_mask:0xf// 000000012EA4: 7E8602FA FF0108FD
	v_mov_b32_e32 v68, v252                                    // 000000012EAC: 7E8803FC
	v_mov_b32_e32 v69, v253                                    // 000000012EB0: 7E8A03FD
	v_cndmask_b32_e64 v252, v68, v64, s[42:43]                 // 000000012EB4: D10000FC 00AA8144
	v_cndmask_b32_e64 v254, v68, v65, s[78:79]                 // 000000012EBC: D10000FE 013A8344
	v_cndmask_b32_e64 v253, v69, v66, s[42:43]                 // 000000012EC4: D10000FD 00AA8545
	v_cndmask_b32_e64 v255, v69, v67, s[78:79]                 // 000000012ECC: D10000FF 013A8745
	v_cvt_f32_i32_e32 v144, v144                               // 000000012ED4: 7F200B90
	v_cvt_f32_i32_e32 v145, v145                               // 000000012ED8: 7F220B91
	v_cvt_f32_i32_e32 v146, v146                               // 000000012EDC: 7F240B92
	v_cvt_f32_i32_e32 v147, v147                               // 000000012EE0: 7F260B93
	v_cvt_f32_i32_e32 v148, v148                               // 000000012EE4: 7F280B94
	v_cvt_f32_i32_e32 v149, v149                               // 000000012EE8: 7F2A0B95
	v_cvt_f32_i32_e32 v150, v150                               // 000000012EEC: 7F2C0B96
	v_cvt_f32_i32_e32 v151, v151                               // 000000012EF0: 7F2E0B97
	v_cvt_f32_i32_e32 v152, v152                               // 000000012EF4: 7F300B98
	v_cvt_f32_i32_e32 v153, v153                               // 000000012EF8: 7F320B99
	v_cvt_f32_i32_e32 v154, v154                               // 000000012EFC: 7F340B9A
	v_cvt_f32_i32_e32 v155, v155                               // 000000012F00: 7F360B9B
	v_cvt_f32_i32_e32 v156, v156                               // 000000012F04: 7F380B9C
	v_cvt_f32_i32_e32 v157, v157                               // 000000012F08: 7F3A0B9D
	v_cvt_f32_i32_e32 v158, v158                               // 000000012F0C: 7F3C0B9E
	v_cvt_f32_i32_e32 v159, v159                               // 000000012F10: 7F3E0B9F
	v_mul_f32_e32 v144, v20, v144                              // 000000012F14: 0B212114
	v_mul_f32_e32 v145, v20, v145                              // 000000012F18: 0B232314
	v_mul_f32_e32 v146, v20, v146                              // 000000012F1C: 0B252514
	v_mul_f32_e32 v147, v20, v147                              // 000000012F20: 0B272714
	v_mul_f32_e32 v148, v20, v148                              // 000000012F24: 0B292914
	v_mul_f32_e32 v149, v20, v149                              // 000000012F28: 0B2B2B14
	v_mul_f32_e32 v150, v20, v150                              // 000000012F2C: 0B2D2D14
	v_mul_f32_e32 v151, v20, v151                              // 000000012F30: 0B2F2F14
	v_mul_f32_e32 v152, v20, v152                              // 000000012F34: 0B313114
	v_mul_f32_e32 v153, v20, v153                              // 000000012F38: 0B333314
	v_mul_f32_e32 v154, v20, v154                              // 000000012F3C: 0B353514
	v_mul_f32_e32 v155, v20, v155                              // 000000012F40: 0B373714
	v_mul_f32_e32 v156, v20, v156                              // 000000012F44: 0B393914
	v_mul_f32_e32 v157, v20, v157                              // 000000012F48: 0B3B3B14
	v_mul_f32_e32 v158, v20, v158                              // 000000012F4C: 0B3D3D14
	v_mul_f32_e32 v159, v20, v159                              // 000000012F50: 0B3F3F14
	v_mul_f32_dpp v144, v248, v144 quad_perm:[0,0,0,0] row_mask:0xf bank_mask:0xf// 000000012F54: 0B2120FA FF0000F8
	v_mul_f32_dpp v145, v248, v145 quad_perm:[1,1,1,1] row_mask:0xf bank_mask:0xf// 000000012F5C: 0B2322FA FF0055F8
	v_mul_f32_dpp v146, v248, v146 quad_perm:[2,2,2,2] row_mask:0xf bank_mask:0xf// 000000012F64: 0B2524FA FF00AAF8
	v_mul_f32_dpp v147, v248, v147 quad_perm:[3,3,3,3] row_mask:0xf bank_mask:0xf// 000000012F6C: 0B2726FA FF00FFF8
	v_mul_f32_dpp v148, v249, v148 quad_perm:[0,0,0,0] row_mask:0xf bank_mask:0xf// 000000012F74: 0B2928FA FF0000F9
	v_mul_f32_dpp v149, v249, v149 quad_perm:[1,1,1,1] row_mask:0xf bank_mask:0xf// 000000012F7C: 0B2B2AFA FF0055F9
	v_mul_f32_dpp v150, v249, v150 quad_perm:[2,2,2,2] row_mask:0xf bank_mask:0xf// 000000012F84: 0B2D2CFA FF00AAF9
	v_mul_f32_dpp v151, v249, v151 quad_perm:[3,3,3,3] row_mask:0xf bank_mask:0xf// 000000012F8C: 0B2F2EFA FF00FFF9
	v_mul_f32_dpp v152, v250, v152 quad_perm:[0,0,0,0] row_mask:0xf bank_mask:0xf// 000000012F94: 0B3130FA FF0000FA
	v_mul_f32_dpp v153, v250, v153 quad_perm:[1,1,1,1] row_mask:0xf bank_mask:0xf// 000000012F9C: 0B3332FA FF0055FA
	v_mul_f32_dpp v154, v250, v154 quad_perm:[2,2,2,2] row_mask:0xf bank_mask:0xf// 000000012FA4: 0B3534FA FF00AAFA
	v_mul_f32_dpp v155, v250, v155 quad_perm:[3,3,3,3] row_mask:0xf bank_mask:0xf// 000000012FAC: 0B3736FA FF00FFFA
	v_mul_f32_dpp v156, v251, v156 quad_perm:[0,0,0,0] row_mask:0xf bank_mask:0xf// 000000012FB4: 0B3938FA FF0000FB
	v_mul_f32_dpp v157, v251, v157 quad_perm:[1,1,1,1] row_mask:0xf bank_mask:0xf// 000000012FBC: 0B3B3AFA FF0055FB
	v_mul_f32_dpp v158, v251, v158 quad_perm:[2,2,2,2] row_mask:0xf bank_mask:0xf// 000000012FC4: 0B3D3CFA FF00AAFB
	v_mul_f32_dpp v159, v251, v159 quad_perm:[3,3,3,3] row_mask:0xf bank_mask:0xf// 000000012FCC: 0B3F3EFA FF00FFFB
	s_cmp_le_i32 s90, s89                                      // 000000012FD4: BF05595A
	s_cbranch_scc1 label_43E8                                  // 000000012FD8: BF850071
	v_mov_b32_e32 v66, 0xff800000                              // 000000012FDC: 7E8402FF FF800000
	s_mov_b32 s60, s90                                         // 000000012FE4: BEBC005A
	s_add_u32 s61, s89, 0xff                                   // 000000012FE8: 803DFF59 000000FF
	v_mov_b32_e32 v64, s61                                     // 000000012FF0: 7E80023D
	v_lshrrev_b32_e32 v240, 4, v0                              // 000000012FF4: 21E00084
	v_mul_i32_i24_e32 v240, 4, v240                            // 000000012FF8: 0DE1E084
	v_add_u32_e32 v240, s60, v240                              // 000000012FFC: 69E1E03C
	s_mov_b32 s61, 2                                           // 000000013000: BEBD0082
	s_mul_i32 s60, 16, s7                                      // 000000013004: 923C0790
	v_sub_u32_e64 v240, v240, s61                              // 000000013008: D13500F0 00007BF0
	v_add_u32_e32 v240, s60, v240                              // 000000013010: 69E1E03C
	v_add_u32_e32 v241, 1, v240                                // 000000013014: 69E3E081
	v_add_u32_e32 v242, 2, v240                                // 000000013018: 69E5E082
	v_add_u32_e32 v243, 3, v240                                // 00000001301C: 69E7E083
	v_cmp_le_u32_e64 s[40:41], v240, v64                       // 000000013020: D0CB0028 000281F0
	v_add_u32_e32 v240, 64, v240                               // 000000013028: 69E1E0C0
	s_nop 0                                                    // 00000001302C: BF800000
	v_cndmask_b32_e64 v144, v66, v144, s[40:41]                // 000000013030: D1000090 00A32142
	v_cmp_le_u32_e64 s[40:41], v241, v64                       // 000000013038: D0CB0028 000281F1
	v_add_u32_e32 v241, 64, v241                               // 000000013040: 69E3E2C0
	s_nop 0                                                    // 000000013044: BF800000
	v_cndmask_b32_e64 v145, v66, v145, s[40:41]                // 000000013048: D1000091 00A32342
	v_cmp_le_u32_e64 s[40:41], v242, v64                       // 000000013050: D0CB0028 000281F2
	v_add_u32_e32 v242, 64, v242                               // 000000013058: 69E5E4C0
	s_nop 0                                                    // 00000001305C: BF800000
	v_cndmask_b32_e64 v146, v66, v146, s[40:41]                // 000000013060: D1000092 00A32542
	v_cmp_le_u32_e64 s[40:41], v243, v64                       // 000000013068: D0CB0028 000281F3
	v_add_u32_e32 v243, 64, v243                               // 000000013070: 69E7E6C0
	s_nop 0                                                    // 000000013074: BF800000
	v_cndmask_b32_e64 v147, v66, v147, s[40:41]                // 000000013078: D1000093 00A32742
	v_cmp_le_u32_e64 s[40:41], v240, v64                       // 000000013080: D0CB0028 000281F0
	v_add_u32_e32 v240, 64, v240                               // 000000013088: 69E1E0C0
	s_nop 0                                                    // 00000001308C: BF800000
	v_cndmask_b32_e64 v148, v66, v148, s[40:41]                // 000000013090: D1000094 00A32942
	v_cmp_le_u32_e64 s[40:41], v241, v64                       // 000000013098: D0CB0028 000281F1
	v_add_u32_e32 v241, 64, v241                               // 0000000130A0: 69E3E2C0
	s_nop 0                                                    // 0000000130A4: BF800000
	v_cndmask_b32_e64 v149, v66, v149, s[40:41]                // 0000000130A8: D1000095 00A32B42
	v_cmp_le_u32_e64 s[40:41], v242, v64                       // 0000000130B0: D0CB0028 000281F2
	v_add_u32_e32 v242, 64, v242                               // 0000000130B8: 69E5E4C0
	s_nop 0                                                    // 0000000130BC: BF800000
	v_cndmask_b32_e64 v150, v66, v150, s[40:41]                // 0000000130C0: D1000096 00A32D42
	v_cmp_le_u32_e64 s[40:41], v243, v64                       // 0000000130C8: D0CB0028 000281F3
	v_add_u32_e32 v243, 64, v243                               // 0000000130D0: 69E7E6C0
	s_nop 0                                                    // 0000000130D4: BF800000
	v_cndmask_b32_e64 v151, v66, v151, s[40:41]                // 0000000130D8: D1000097 00A32F42
	v_cmp_le_u32_e64 s[40:41], v240, v64                       // 0000000130E0: D0CB0028 000281F0
	v_add_u32_e32 v240, 64, v240                               // 0000000130E8: 69E1E0C0
	s_nop 0                                                    // 0000000130EC: BF800000
	v_cndmask_b32_e64 v152, v66, v152, s[40:41]                // 0000000130F0: D1000098 00A33142
	v_cmp_le_u32_e64 s[40:41], v241, v64                       // 0000000130F8: D0CB0028 000281F1
	v_add_u32_e32 v241, 64, v241                               // 000000013100: 69E3E2C0
	s_nop 0                                                    // 000000013104: BF800000
	v_cndmask_b32_e64 v153, v66, v153, s[40:41]                // 000000013108: D1000099 00A33342
	v_cmp_le_u32_e64 s[40:41], v242, v64                       // 000000013110: D0CB0028 000281F2
	v_add_u32_e32 v242, 64, v242                               // 000000013118: 69E5E4C0
	s_nop 0                                                    // 00000001311C: BF800000
	v_cndmask_b32_e64 v154, v66, v154, s[40:41]                // 000000013120: D100009A 00A33542
	v_cmp_le_u32_e64 s[40:41], v243, v64                       // 000000013128: D0CB0028 000281F3
	v_add_u32_e32 v243, 64, v243                               // 000000013130: 69E7E6C0
	s_nop 0                                                    // 000000013134: BF800000
	v_cndmask_b32_e64 v155, v66, v155, s[40:41]                // 000000013138: D100009B 00A33742
	v_cmp_le_u32_e64 s[40:41], v240, v64                       // 000000013140: D0CB0028 000281F0
	v_add_u32_e32 v240, 64, v240                               // 000000013148: 69E1E0C0
	s_nop 0                                                    // 00000001314C: BF800000
	v_cndmask_b32_e64 v156, v66, v156, s[40:41]                // 000000013150: D100009C 00A33942
	v_cmp_le_u32_e64 s[40:41], v241, v64                       // 000000013158: D0CB0028 000281F1
	v_add_u32_e32 v241, 64, v241                               // 000000013160: 69E3E2C0
	s_nop 0                                                    // 000000013164: BF800000
	v_cndmask_b32_e64 v157, v66, v157, s[40:41]                // 000000013168: D100009D 00A33B42
	v_cmp_le_u32_e64 s[40:41], v242, v64                       // 000000013170: D0CB0028 000281F2
	v_add_u32_e32 v242, 64, v242                               // 000000013178: 69E5E4C0
	s_nop 0                                                    // 00000001317C: BF800000
	v_cndmask_b32_e64 v158, v66, v158, s[40:41]                // 000000013180: D100009E 00A33D42
	v_cmp_le_u32_e64 s[40:41], v243, v64                       // 000000013188: D0CB0028 000281F3
	v_add_u32_e32 v243, 64, v243                               // 000000013190: 69E7E6C0
	s_nop 0                                                    // 000000013194: BF800000
	v_cndmask_b32_e64 v159, v66, v159, s[40:41]                // 000000013198: D100009F 00A33F42

00000000000131a0 <label_43E8>:
	s_add_u32 s90, s91, s90                                    // 0000000131A0: 805A5A5B
	v_mov_b32_e32 v48, v144                                    // 0000000131A4: 7E600390
	v_max3_f32 v48, v144, v145, v48                            // 0000000131A8: D1D30030 04C32390
	v_max3_f32 v48, v146, v147, v48                            // 0000000131B0: D1D30030 04C32792
	v_max3_f32 v48, v148, v149, v48                            // 0000000131B8: D1D30030 04C32B94
	v_max3_f32 v48, v150, v151, v48                            // 0000000131C0: D1D30030 04C32F96
	v_max3_f32 v48, v152, v153, v48                            // 0000000131C8: D1D30030 04C33398
	v_max3_f32 v48, v154, v155, v48                            // 0000000131D0: D1D30030 04C3379A
	v_max3_f32 v48, v156, v157, v48                            // 0000000131D8: D1D30030 04C33B9C
	v_max3_f32 v48, v158, v159, v48                            // 0000000131E0: D1D30030 04C33F9E
	ds_write_b32 v8, v48 offset:16896                          // 0000000131E8: D81A4200 00003008
	v_mul_f32_e32 v224, v51, v224                              // 0000000131F0: 0BC1C133
	v_mul_f32_e32 v225, v51, v225                              // 0000000131F4: 0BC3C333
	v_mul_f32_e32 v226, v51, v226                              // 0000000131F8: 0BC5C533
	v_mul_f32_e32 v227, v51, v227                              // 0000000131FC: 0BC7C733
	v_mul_f32_e32 v228, v51, v228                              // 000000013200: 0BC9C933
	v_mul_f32_e32 v229, v51, v229                              // 000000013204: 0BCBCB33
	v_mul_f32_e32 v230, v51, v230                              // 000000013208: 0BCDCD33
	v_mul_f32_e32 v231, v51, v231                              // 00000001320C: 0BCFCF33
	s_waitcnt lgkmcnt(0)                                       // 000000013210: BF8CC07F
	s_barrier                                                  // 000000013214: BF8A0000
	ds_read_b32 v64, v7 offset:16896                           // 000000013218: D86C4200 40000007
	ds_read_b32 v65, v7 offset:16960                           // 000000013220: D86C4240 41000007
	ds_read_b32 v66, v7 offset:17024                           // 000000013228: D86C4280 42000007
	ds_read_b32 v67, v7 offset:17088                           // 000000013230: D86C42C0 43000007
	ds_read_b32 v68, v7 offset:17152                           // 000000013238: D86C4300 44000007
	ds_read_b32 v69, v7 offset:17216                           // 000000013240: D86C4340 45000007
	ds_read_b32 v70, v7 offset:17280                           // 000000013248: D86C4380 46000007
	ds_read_b32 v71, v7 offset:17344                           // 000000013250: D86C43C0 47000007
	ds_read_b32 v72, v7 offset:17408                           // 000000013258: D86C4400 48000007
	ds_read_b32 v73, v7 offset:17472                           // 000000013260: D86C4440 49000007
	ds_read_b32 v74, v7 offset:17536                           // 000000013268: D86C4480 4A000007
	ds_read_b32 v75, v7 offset:17600                           // 000000013270: D86C44C0 4B000007
	ds_read_b32 v76, v7 offset:17664                           // 000000013278: D86C4500 4C000007
	ds_read_b32 v77, v7 offset:17728                           // 000000013280: D86C4540 4D000007
	ds_read_b32 v78, v7 offset:17792                           // 000000013288: D86C4580 4E000007
	ds_read_b32 v79, v7 offset:17856                           // 000000013290: D86C45C0 4F000007
	v_cvt_f32_i32_e32 v192, v192                               // 000000013298: 7F800BC0
	v_cvt_f32_i32_e32 v193, v193                               // 00000001329C: 7F820BC1
	v_cvt_f32_i32_e32 v194, v194                               // 0000000132A0: 7F840BC2
	v_cvt_f32_i32_e32 v195, v195                               // 0000000132A4: 7F860BC3
	v_cvt_f32_i32_e32 v196, v196                               // 0000000132A8: 7F880BC4
	v_cvt_f32_i32_e32 v197, v197                               // 0000000132AC: 7F8A0BC5
	v_cvt_f32_i32_e32 v198, v198                               // 0000000132B0: 7F8C0BC6
	v_cvt_f32_i32_e32 v199, v199                               // 0000000132B4: 7F8E0BC7
	v_mul_f32_e32 v192, v46, v192                              // 0000000132B8: 0B81812E
	v_mul_f32_e32 v193, v46, v193                              // 0000000132BC: 0B83832E
	v_mul_f32_e32 v194, v46, v194                              // 0000000132C0: 0B85852E
	v_mul_f32_e32 v195, v46, v195                              // 0000000132C4: 0B87872E
	v_mul_f32_e32 v196, v46, v196                              // 0000000132C8: 0B89892E
	v_mul_f32_e32 v197, v46, v197                              // 0000000132CC: 0B8B8B2E
	v_mul_f32_e32 v198, v46, v198                              // 0000000132D0: 0B8D8D2E
	v_mul_f32_e32 v199, v46, v199                              // 0000000132D4: 0B8F8F2E
	s_waitcnt lgkmcnt(0)                                       // 0000000132D8: BF8CC07F
	v_max3_f32 v48, v64, v65, v48                              // 0000000132DC: D1D30030 04C28340
	v_max3_f32 v48, v66, v67, v48                              // 0000000132E4: D1D30030 04C28742
	v_max3_f32 v48, v68, v69, v48                              // 0000000132EC: D1D30030 04C28B44
	v_max3_f32 v48, v70, v71, v48                              // 0000000132F4: D1D30030 04C28F46
	v_max3_f32 v48, v72, v73, v48                              // 0000000132FC: D1D30030 04C29348
	v_max3_f32 v48, v74, v75, v48                              // 000000013304: D1D30030 04C2974A
	v_max3_f32 v48, v76, v77, v48                              // 00000001330C: D1D30030 04C29B4C
	v_max3_f32 v48, v78, v79, v48                              // 000000013314: D1D30030 04C29F4E
	v_mov_b32_e32 v64, 0xff800000                              // 00000001331C: 7E8002FF FF800000
	v_cmp_eq_u32_e64 s[40:41], v64, v13                        // 000000013324: D0CA0028 00021B40
	s_nop 1                                                    // 00000001332C: BF800001
	v_max_f32_e32 v15, v48, v13                                // 000000013330: 161E1B30
	v_mul_f32_e32 v53, s64, v15                                // 000000013334: 0A6A1E40
	v_fma_f32 v144, v144, s64, -v53                            // 000000013338: D1CB0090 84D48190
	v_fma_f32 v145, v145, s64, -v53                            // 000000013340: D1CB0091 84D48191
	v_fma_f32 v146, v146, s64, -v53                            // 000000013348: D1CB0092 84D48192
	v_fma_f32 v147, v147, s64, -v53                            // 000000013350: D1CB0093 84D48193
	v_fma_f32 v148, v148, s64, -v53                            // 000000013358: D1CB0094 84D48194
	v_fma_f32 v149, v149, s64, -v53                            // 000000013360: D1CB0095 84D48195
	v_fma_f32 v150, v150, s64, -v53                            // 000000013368: D1CB0096 84D48196
	v_fma_f32 v151, v151, s64, -v53                            // 000000013370: D1CB0097 84D48197
	v_fma_f32 v152, v152, s64, -v53                            // 000000013378: D1CB0098 84D48198
	v_fma_f32 v153, v153, s64, -v53                            // 000000013380: D1CB0099 84D48199
	v_fma_f32 v154, v154, s64, -v53                            // 000000013388: D1CB009A 84D4819A
	v_fma_f32 v155, v155, s64, -v53                            // 000000013390: D1CB009B 84D4819B
	v_fma_f32 v156, v156, s64, -v53                            // 000000013398: D1CB009C 84D4819C
	v_fma_f32 v157, v157, s64, -v53                            // 0000000133A0: D1CB009D 84D4819D
	v_fma_f32 v158, v158, s64, -v53                            // 0000000133A8: D1CB009E 84D4819E
	v_fma_f32 v159, v159, s64, -v53                            // 0000000133B0: D1CB009F 84D4819F
	v_exp_f32_e32 v144, v144                                   // 0000000133B8: 7F204190
	v_exp_f32_e32 v145, v145                                   // 0000000133BC: 7F224191
	v_exp_f32_e32 v146, v146                                   // 0000000133C0: 7F244192
	v_exp_f32_e32 v147, v147                                   // 0000000133C4: 7F264193
	v_exp_f32_e32 v148, v148                                   // 0000000133C8: 7F284194
	v_exp_f32_e32 v149, v149                                   // 0000000133CC: 7F2A4195
	v_exp_f32_e32 v150, v150                                   // 0000000133D0: 7F2C4196
	v_exp_f32_e32 v151, v151                                   // 0000000133D4: 7F2E4197
	v_exp_f32_e32 v152, v152                                   // 0000000133D8: 7F304198
	v_exp_f32_e32 v153, v153                                   // 0000000133DC: 7F324199
	v_exp_f32_e32 v154, v154                                   // 0000000133E0: 7F34419A
	v_exp_f32_e32 v155, v155                                   // 0000000133E4: 7F36419B
	v_exp_f32_e32 v156, v156                                   // 0000000133E8: 7F38419C
	v_exp_f32_e32 v157, v157                                   // 0000000133EC: 7F3A419D
	v_exp_f32_e32 v158, v158                                   // 0000000133F0: 7F3C419E
	v_exp_f32_e32 v159, v159                                   // 0000000133F4: 7F3E419F
	v_mul_f32_dpp v240, v252, v144 quad_perm:[0,0,0,0] row_mask:0xf bank_mask:0xf// 0000000133F8: 0BE120FA FF0000FC
	v_mul_f32_dpp v241, v252, v145 quad_perm:[1,1,1,1] row_mask:0xf bank_mask:0xf// 000000013400: 0BE322FA FF0055FC
	v_mul_f32_dpp v242, v252, v146 quad_perm:[2,2,2,2] row_mask:0xf bank_mask:0xf// 000000013408: 0BE524FA FF00AAFC
	v_mul_f32_dpp v243, v252, v147 quad_perm:[3,3,3,3] row_mask:0xf bank_mask:0xf// 000000013410: 0BE726FA FF00FFFC
	v_mul_f32_dpp v244, v253, v148 quad_perm:[0,0,0,0] row_mask:0xf bank_mask:0xf// 000000013418: 0BE928FA FF0000FD
	v_mul_f32_dpp v245, v253, v149 quad_perm:[1,1,1,1] row_mask:0xf bank_mask:0xf// 000000013420: 0BEB2AFA FF0055FD
	v_mul_f32_dpp v246, v253, v150 quad_perm:[2,2,2,2] row_mask:0xf bank_mask:0xf// 000000013428: 0BED2CFA FF00AAFD
	v_mul_f32_dpp v247, v253, v151 quad_perm:[3,3,3,3] row_mask:0xf bank_mask:0xf// 000000013430: 0BEF2EFA FF00FFFD
	v_mul_f32_dpp v248, v254, v152 quad_perm:[0,0,0,0] row_mask:0xf bank_mask:0xf// 000000013438: 0BF130FA FF0000FE
	v_mul_f32_dpp v249, v254, v153 quad_perm:[1,1,1,1] row_mask:0xf bank_mask:0xf// 000000013440: 0BF332FA FF0055FE
	v_mul_f32_dpp v250, v254, v154 quad_perm:[2,2,2,2] row_mask:0xf bank_mask:0xf// 000000013448: 0BF534FA FF00AAFE
	v_mul_f32_dpp v251, v254, v155 quad_perm:[3,3,3,3] row_mask:0xf bank_mask:0xf// 000000013450: 0BF736FA FF00FFFE
	v_mul_f32_dpp v252, v255, v156 quad_perm:[0,0,0,0] row_mask:0xf bank_mask:0xf// 000000013458: 0BF938FA FF0000FF
	v_mul_f32_dpp v253, v255, v157 quad_perm:[1,1,1,1] row_mask:0xf bank_mask:0xf// 000000013460: 0BFB3AFA FF0055FF
	v_mul_f32_dpp v254, v255, v158 quad_perm:[2,2,2,2] row_mask:0xf bank_mask:0xf// 000000013468: 0BFD3CFA FF00AAFF
	v_mul_f32_dpp v255, v255, v159 quad_perm:[3,3,3,3] row_mask:0xf bank_mask:0xf// 000000013470: 0BFF3EFA FF00FFFF
	v_mov_b32_e32 v48, 0x358637bd                              // 000000013478: 7E6002FF 358637BD
	v_max3_f32 v48, |v240|, |v241|, v48                        // 000000013480: D1D30330 04C3E3F0
	v_max3_f32 v48, |v242|, |v243|, v48                        // 000000013488: D1D30330 04C3E7F2
	v_max3_f32 v48, |v244|, |v245|, v48                        // 000000013490: D1D30330 04C3EBF4
	v_max3_f32 v48, |v246|, |v247|, v48                        // 000000013498: D1D30330 04C3EFF6
	v_max3_f32 v48, |v248|, |v249|, v48                        // 0000000134A0: D1D30330 04C3F3F8
	v_max3_f32 v48, |v250|, |v251|, v48                        // 0000000134A8: D1D30330 04C3F7FA
	v_max3_f32 v48, |v252|, |v253|, v48                        // 0000000134B0: D1D30330 04C3FBFC
	v_max3_f32 v48, |v254|, |v255|, v48                        // 0000000134B8: D1D30330 04C3FFFE
	ds_write_b32 v8, v48 offset:20992                          // 0000000134C0: D81A5200 00003008
	v_sub_f32_e32 v51, v13, v15                                // 0000000134C8: 04661F0D
	v_cndmask_b32_e64 v51, v51, 0, s[40:41]                    // 0000000134CC: D1000033 00A10133
	v_mov_b32_e32 v13, v15                                     // 0000000134D4: 7E1A030F
	v_mul_f32_e32 v51, s64, v51                                // 0000000134D8: 0A666640
	v_exp_f32_e32 v51, v51                                     // 0000000134DC: 7E664133
	s_waitcnt lgkmcnt(0)                                       // 0000000134E0: BF8CC07F
	s_barrier                                                  // 0000000134E4: BF8A0000
	ds_read_b32 v64, v7 offset:20992                           // 0000000134E8: D86C5200 40000007
	ds_read_b32 v65, v7 offset:21056                           // 0000000134F0: D86C5240 41000007
	ds_read_b32 v66, v7 offset:21120                           // 0000000134F8: D86C5280 42000007
	ds_read_b32 v67, v7 offset:21184                           // 000000013500: D86C52C0 43000007
	ds_read_b32 v68, v7 offset:21248                           // 000000013508: D86C5300 44000007
	ds_read_b32 v69, v7 offset:21312                           // 000000013510: D86C5340 45000007
	ds_read_b32 v70, v7 offset:21376                           // 000000013518: D86C5380 46000007
	ds_read_b32 v71, v7 offset:21440                           // 000000013520: D86C53C0 47000007
	ds_read_b32 v72, v7 offset:21504                           // 000000013528: D86C5400 48000007
	ds_read_b32 v73, v7 offset:21568                           // 000000013530: D86C5440 49000007
	ds_read_b32 v74, v7 offset:21632                           // 000000013538: D86C5480 4A000007
	ds_read_b32 v75, v7 offset:21696                           // 000000013540: D86C54C0 4B000007
	ds_read_b32 v76, v7 offset:21760                           // 000000013548: D86C5500 4C000007
	ds_read_b32 v77, v7 offset:21824                           // 000000013550: D86C5540 4D000007
	ds_read_b32 v78, v7 offset:21888                           // 000000013558: D86C5580 4E000007
	ds_read_b32 v79, v7 offset:21952                           // 000000013560: D86C55C0 4F000007
	v_mul_f32_e32 v40, v51, v40                                // 000000013568: 0A505133
	v_mov_b32_e32 v15, v144                                    // 00000001356C: 7E1E0390
	v_add_f32_e32 v15, v145, v15                               // 000000013570: 021E1F91
	v_add_f32_e32 v15, v146, v15                               // 000000013574: 021E1F92
	v_add_f32_e32 v15, v147, v15                               // 000000013578: 021E1F93
	v_add_f32_e32 v15, v148, v15                               // 00000001357C: 021E1F94
	v_add_f32_e32 v15, v149, v15                               // 000000013580: 021E1F95
	v_add_f32_e32 v15, v150, v15                               // 000000013584: 021E1F96
	v_add_f32_e32 v15, v151, v15                               // 000000013588: 021E1F97
	v_add_f32_e32 v15, v152, v15                               // 00000001358C: 021E1F98
	v_add_f32_e32 v15, v153, v15                               // 000000013590: 021E1F99
	v_add_f32_e32 v15, v154, v15                               // 000000013594: 021E1F9A
	v_add_f32_e32 v15, v155, v15                               // 000000013598: 021E1F9B
	v_add_f32_e32 v15, v156, v15                               // 00000001359C: 021E1F9C
	v_add_f32_e32 v15, v157, v15                               // 0000000135A0: 021E1F9D
	v_add_f32_e32 v15, v158, v15                               // 0000000135A4: 021E1F9E
	v_add_f32_e32 v15, v159, v15                               // 0000000135A8: 021E1F9F
	v_add_f32_e32 v40, v15, v40                                // 0000000135AC: 0250510F
	s_waitcnt lgkmcnt(0)                                       // 0000000135B0: BF8CC07F
	v_max3_f32 v48, |v64|, |v65|, v48                          // 0000000135B4: D1D30330 04C28340
	v_max3_f32 v48, |v66|, |v67|, v48                          // 0000000135BC: D1D30330 04C28742
	v_max3_f32 v48, |v68|, |v69|, v48                          // 0000000135C4: D1D30330 04C28B44
	v_max3_f32 v48, |v70|, |v71|, v48                          // 0000000135CC: D1D30330 04C28F46
	v_max3_f32 v48, |v72|, |v73|, v48                          // 0000000135D4: D1D30330 04C29348
	v_max3_f32 v48, |v74|, |v75|, v48                          // 0000000135DC: D1D30330 04C2974A
	v_max3_f32 v48, |v76|, |v77|, v48                          // 0000000135E4: D1D30330 04C29B4C
	v_max3_f32 v48, |v78|, |v79|, v48                          // 0000000135EC: D1D30330 04C29F4E
	s_nop 2                                                    // 0000000135F4: BF800002
	v_rcp_f32_e32 v48, v48                                     // 0000000135F8: 7E604530
	s_nop 1                                                    // 0000000135FC: BF800001
	v_mul_f32_e32 v48, 0x42fe0000, v48                         // 000000013600: 0A6060FF 42FE0000
	v_mul_f32_e32 v144, v48, v240                              // 000000013608: 0B21E130
	v_mul_f32_e32 v145, v48, v241                              // 00000001360C: 0B23E330
	v_mul_f32_e32 v146, v48, v242                              // 000000013610: 0B25E530
	v_mul_f32_e32 v147, v48, v243                              // 000000013614: 0B27E730
	v_mul_f32_e32 v148, v48, v244                              // 000000013618: 0B29E930
	v_mul_f32_e32 v149, v48, v245                              // 00000001361C: 0B2BEB30
	v_mul_f32_e32 v150, v48, v246                              // 000000013620: 0B2DED30
	v_mul_f32_e32 v151, v48, v247                              // 000000013624: 0B2FEF30
	v_mul_f32_e32 v152, v48, v248                              // 000000013628: 0B31F130
	v_mul_f32_e32 v153, v48, v249                              // 00000001362C: 0B33F330
	v_mul_f32_e32 v154, v48, v250                              // 000000013630: 0B35F530
	v_mul_f32_e32 v155, v48, v251                              // 000000013634: 0B37F730
	v_mul_f32_e32 v156, v48, v252                              // 000000013638: 0B39F930
	v_mul_f32_e32 v157, v48, v253                              // 00000001363C: 0B3BFB30
	v_mul_f32_e32 v158, v48, v254                              // 000000013640: 0B3DFD30
	v_mul_f32_e32 v159, v48, v255                              // 000000013644: 0B3FFF30
	v_cvt_i32_f32_e32 v144, v144                               // 000000013648: 7F201190
	v_cvt_i32_f32_e32 v145, v145                               // 00000001364C: 7F221191
	v_cvt_i32_f32_e32 v146, v146                               // 000000013650: 7F241192
	v_cvt_i32_f32_e32 v147, v147                               // 000000013654: 7F261193
	v_cvt_i32_f32_e32 v148, v148                               // 000000013658: 7F281194
	v_cvt_i32_f32_e32 v149, v149                               // 00000001365C: 7F2A1195
	v_cvt_i32_f32_e32 v150, v150                               // 000000013660: 7F2C1196
	v_cvt_i32_f32_e32 v151, v151                               // 000000013664: 7F2E1197
	v_cvt_i32_f32_e32 v152, v152                               // 000000013668: 7F301198
	v_cvt_i32_f32_e32 v153, v153                               // 00000001366C: 7F321199
	v_cvt_i32_f32_e32 v154, v154                               // 000000013670: 7F34119A
	v_cvt_i32_f32_e32 v155, v155                               // 000000013674: 7F36119B
	v_cvt_i32_f32_e32 v156, v156                               // 000000013678: 7F38119C
	v_cvt_i32_f32_e32 v157, v157                               // 00000001367C: 7F3A119D
	v_cvt_i32_f32_e32 v158, v158                               // 000000013680: 7F3C119E
	v_cvt_i32_f32_e32 v159, v159                               // 000000013684: 7F3E119F
	v_perm_b32 v144, v145, v144, s53                           // 000000013688: D1ED0090 00D72191
	v_perm_b32 v144, v146, v144, s54                           // 000000013690: D1ED0090 00DB2192
	v_perm_b32 v144, v147, v144, s55                           // 000000013698: D1ED0090 00DF2193
	v_perm_b32 v145, v149, v148, s53                           // 0000000136A0: D1ED0091 00D72995
	v_perm_b32 v145, v150, v145, s54                           // 0000000136A8: D1ED0091 00DB2396
	v_perm_b32 v145, v151, v145, s55                           // 0000000136B0: D1ED0091 00DF2397
	v_perm_b32 v146, v153, v152, s53                           // 0000000136B8: D1ED0092 00D73199
	v_perm_b32 v146, v154, v146, s54                           // 0000000136C0: D1ED0092 00DB259A
	v_perm_b32 v146, v155, v146, s55                           // 0000000136C8: D1ED0092 00DF259B
	v_perm_b32 v147, v157, v156, s53                           // 0000000136D0: D1ED0093 00D7399D
	v_perm_b32 v147, v158, v147, s54                           // 0000000136D8: D1ED0093 00DB279E
	v_perm_b32 v147, v159, v147, s55                           // 0000000136E0: D1ED0093 00DF279F
	ds_write_b32 v10, v144 offset:33280                        // 0000000136E8: D81A8200 0000900A
	ds_write_b32 v10, v145 offset:34304                        // 0000000136F0: D81A8600 0000910A
	ds_write_b32 v10, v146 offset:35328                        // 0000000136F8: D81A8A00 0000920A
	ds_write_b32 v10, v147 offset:36352                        // 000000013700: D81A8E00 0000930A
	v_add_f32_e32 v224, v224, v192                             // 000000013708: 03C181E0
	v_add_f32_e32 v225, v225, v193                             // 00000001370C: 03C383E1
	v_add_f32_e32 v226, v226, v194                             // 000000013710: 03C585E2
	v_add_f32_e32 v227, v227, v195                             // 000000013714: 03C787E3
	v_add_f32_e32 v228, v228, v196                             // 000000013718: 03C989E4
	v_add_f32_e32 v229, v229, v197                             // 00000001371C: 03CB8BE5
	v_add_f32_e32 v230, v230, v198                             // 000000013720: 03CD8DE6
	v_add_f32_e32 v231, v231, v199                             // 000000013724: 03CF8FE7
	v_rcp_f32_e32 v46, v48                                     // 000000013728: 7E5C4530
	s_waitcnt lgkmcnt(0)                                       // 00000001372C: BF8CC07F
	s_barrier                                                  // 000000013730: BF8A0000
	ds_read_b64 v[144:145], v9 offset:33280                    // 000000013734: D8EC8200 90000009
	ds_read_b64 v[146:147], v9 offset:33408                    // 00000001373C: D8EC8280 92000009
	ds_read_b64 v[148:149], v9 offset:34304                    // 000000013744: D8EC8600 94000009
	ds_read_b64 v[150:151], v9 offset:34432                    // 00000001374C: D8EC8680 96000009
	ds_read_b64 v[152:153], v9 offset:35328                    // 000000013754: D8EC8A00 98000009
	ds_read_b64 v[154:155], v9 offset:35456                    // 00000001375C: D8EC8A80 9A000009
	ds_read_b64 v[156:157], v9 offset:36352                    // 000000013764: D8EC8E00 9C000009
	ds_read_b64 v[158:159], v9 offset:36480                    // 00000001376C: D8EC8E80 9E000009
	s_waitcnt vmcnt(15)                                        // 000000013774: BF8C0F7F
	v_mfma_i32_16x16x32_i8 v[176:179], a[64:65], v[112:113], 0 // 000000013778: D3D700B0 0A02E140
	v_mfma_i32_16x16x32_i8 v[176:179], a[66:67], v[114:115], v[176:179]// 000000013780: D3D700B0 0EC2E542
	buffer_load_dwordx4 a[112:115], v34, s[20:23], 0 offen offset:1024// 000000013788: E05C1400 80857022
	v_mfma_i32_16x16x32_i8 v[176:179], a[68:69], v[116:117], v[176:179]// 000000013790: D3D700B0 0EC2E944
	v_mfma_i32_16x16x32_i8 v[176:179], a[70:71], v[118:119], v[176:179]// 000000013798: D3D700B0 0EC2ED46
	v_mfma_i32_16x16x32_i8 v[176:179], a[72:73], v[120:121], v[176:179]// 0000000137A0: D3D700B0 0EC2F148
	v_mfma_i32_16x16x32_i8 v[176:179], a[74:75], v[122:123], v[176:179]// 0000000137A8: D3D700B0 0EC2F54A
	buffer_load_dwordx4 a[116:119], v35, s[20:23], 0 offen offset:1024// 0000000137B0: E05C1400 80857423
	v_mfma_i32_16x16x32_i8 v[176:179], a[76:77], v[124:125], v[176:179]// 0000000137B8: D3D700B0 0EC2F94C
	v_mfma_i32_16x16x32_i8 v[176:179], a[78:79], v[126:127], v[176:179]// 0000000137C0: D3D700B0 0EC2FD4E
	v_mfma_i32_16x16x32_i8 v[180:183], a[80:81], v[112:113], 0 // 0000000137C8: D3D700B4 0A02E150
	v_mfma_i32_16x16x32_i8 v[180:183], a[82:83], v[114:115], v[180:183]// 0000000137D0: D3D700B4 0ED2E552
	buffer_load_dwordx4 a[120:123], v36, s[20:23], 0 offen offset:1024// 0000000137D8: E05C1400 80857824
	v_mfma_i32_16x16x32_i8 v[180:183], a[84:85], v[116:117], v[180:183]// 0000000137E0: D3D700B4 0ED2E954
	v_mfma_i32_16x16x32_i8 v[180:183], a[86:87], v[118:119], v[180:183]// 0000000137E8: D3D700B4 0ED2ED56
	v_mfma_i32_16x16x32_i8 v[180:183], a[88:89], v[120:121], v[180:183]// 0000000137F0: D3D700B4 0ED2F158
	v_mfma_i32_16x16x32_i8 v[180:183], a[90:91], v[122:123], v[180:183]// 0000000137F8: D3D700B4 0ED2F55A
	buffer_load_dwordx4 a[124:127], v37, s[20:23], 0 offen offset:1024// 000000013800: E05C1400 80857C25
	v_mfma_i32_16x16x32_i8 v[180:183], a[92:93], v[124:125], v[180:183]// 000000013808: D3D700B4 0ED2F95C
	s_lshr_b32 s57, s70, 4                                     // 000000013810: 8F398446
	s_add_u32 s57, 48, s57                                     // 000000013814: 803939B0
	v_mfma_i32_16x16x32_i8 v[180:183], a[94:95], v[126:127], v[180:183]// 000000013818: D3D700B4 0ED2FD5E
	s_cmp_ge_u32 s57, s73                                      // 000000013820: BF094939
	s_cselect_b32 s56, 0, s56                                  // 000000013824: 85383880
	v_mfma_i32_16x16x32_i8 v[184:187], a[64:65], v[128:129], 0 // 000000013828: D3D700B8 0A030140
	v_mfma_i32_16x16x32_i8 v[184:187], a[66:67], v[130:131], v[184:187]// 000000013830: D3D700B8 0EE30542
	v_mfma_i32_16x16x32_i8 v[184:187], a[68:69], v[132:133], v[184:187]// 000000013838: D3D700B8 0EE30944
	v_mfma_i32_16x16x32_i8 v[184:187], a[70:71], v[134:135], v[184:187]// 000000013840: D3D700B8 0EE30D46
	v_mfma_i32_16x16x32_i8 v[184:187], a[72:73], v[136:137], v[184:187]// 000000013848: D3D700B8 0EE31148
	v_mfma_i32_16x16x32_i8 v[184:187], a[74:75], v[138:139], v[184:187]// 000000013850: D3D700B8 0EE3154A
	v_mfma_i32_16x16x32_i8 v[184:187], a[76:77], v[140:141], v[184:187]// 000000013858: D3D700B8 0EE3194C
	v_mfma_i32_16x16x32_i8 v[184:187], a[78:79], v[142:143], v[184:187]// 000000013860: D3D700B8 0EE31D4E
	v_mfma_i32_16x16x32_i8 v[188:191], a[80:81], v[128:129], 0 // 000000013868: D3D700BC 0A030150
	v_mfma_i32_16x16x32_i8 v[188:191], a[82:83], v[130:131], v[188:191]// 000000013870: D3D700BC 0EF30552
	v_mfma_i32_16x16x32_i8 v[188:191], a[84:85], v[132:133], v[188:191]// 000000013878: D3D700BC 0EF30954
	v_mfma_i32_16x16x32_i8 v[188:191], a[86:87], v[134:135], v[188:191]// 000000013880: D3D700BC 0EF30D56
	v_mfma_i32_16x16x32_i8 v[188:191], a[88:89], v[136:137], v[188:191]// 000000013888: D3D700BC 0EF31158
	v_mfma_i32_16x16x32_i8 v[188:191], a[90:91], v[138:139], v[188:191]// 000000013890: D3D700BC 0EF3155A
	v_mfma_i32_16x16x32_i8 v[188:191], a[92:93], v[140:141], v[188:191]// 000000013898: D3D700BC 0EF3195C
	v_mfma_i32_16x16x32_i8 v[188:191], a[94:95], v[142:143], v[188:191]// 0000000138A0: D3D700BC 0EF31D5E
	v_mfma_i32_16x16x32_i8 v[192:195], a[64:65], v[144:145], 0 // 0000000138A8: D3D700C0 0A032140
	v_mfma_i32_16x16x32_i8 v[192:195], a[66:67], v[146:147], v[192:195]// 0000000138B0: D3D700C0 0F032542
	v_mfma_i32_16x16x32_i8 v[192:195], a[68:69], v[148:149], v[192:195]// 0000000138B8: D3D700C0 0F032944
	v_mfma_i32_16x16x32_i8 v[192:195], a[70:71], v[150:151], v[192:195]// 0000000138C0: D3D700C0 0F032D46
	v_mfma_i32_16x16x32_i8 v[192:195], a[72:73], v[152:153], v[192:195]// 0000000138C8: D3D700C0 0F033148
	v_mfma_i32_16x16x32_i8 v[192:195], a[74:75], v[154:155], v[192:195]// 0000000138D0: D3D700C0 0F03354A
	v_mfma_i32_16x16x32_i8 v[192:195], a[76:77], v[156:157], v[192:195]// 0000000138D8: D3D700C0 0F03394C
	v_mfma_i32_16x16x32_i8 v[192:195], a[78:79], v[158:159], v[192:195]// 0000000138E0: D3D700C0 0F033D4E
	v_mfma_i32_16x16x32_i8 v[196:199], a[80:81], v[144:145], 0 // 0000000138E8: D3D700C4 0A032150
	v_mfma_i32_16x16x32_i8 v[196:199], a[82:83], v[146:147], v[196:199]// 0000000138F0: D3D700C4 0F132552
	v_mfma_i32_16x16x32_i8 v[196:199], a[84:85], v[148:149], v[196:199]// 0000000138F8: D3D700C4 0F132954
	v_mfma_i32_16x16x32_i8 v[196:199], a[86:87], v[150:151], v[196:199]// 000000013900: D3D700C4 0F132D56
	v_mfma_i32_16x16x32_i8 v[196:199], a[88:89], v[152:153], v[196:199]// 000000013908: D3D700C4 0F133158
	v_mfma_i32_16x16x32_i8 v[196:199], a[90:91], v[154:155], v[196:199]// 000000013910: D3D700C4 0F13355A
	v_mfma_i32_16x16x32_i8 v[196:199], a[92:93], v[156:157], v[196:199]// 000000013918: D3D700C4 0F13395C
	v_mfma_i32_16x16x32_i8 v[196:199], a[94:95], v[158:159], v[196:199]// 000000013920: D3D700C4 0F133D5E
	v_add_u32_e32 v1, s56, v1                                  // 000000013928: 68020238
	s_addk_i32 s70, 0x100                                      // 00000001392C: B7460100
	s_cmp_lt_i32 s70, s71                                      // 000000013930: BF044746
	s_cbranch_scc0 label_4DEF                                  // 000000013934: BF840821
	s_waitcnt vmcnt(8) lgkmcnt(0)                              // 000000013938: BF8C0078
	v_mul_u32_u24_dpp v64, v16, v54 row_newbcast:0 row_mask:0xf bank_mask:0xf// 00000001393C: 10806CFA FF015010
	v_mul_u32_u24_dpp v65, v16, v54 row_newbcast:4 row_mask:0xf bank_mask:0xf// 000000013944: 10826CFA FF015410
	v_mul_u32_u24_dpp v66, v16, v54 row_newbcast:8 row_mask:0xf bank_mask:0xf// 00000001394C: 10846CFA FF015810
	v_mul_u32_u24_dpp v67, v16, v54 row_newbcast:12 row_mask:0xf bank_mask:0xf// 000000013954: 10866CFA FF015C10
	v_add_u32_e32 v22, v64, v5                                 // 00000001395C: 682C0B40
	v_add_u32_e32 v23, v65, v5                                 // 000000013960: 682E0B41
	v_add_u32_e32 v24, v66, v5                                 // 000000013964: 68300B42
	v_add_u32_e32 v25, v67, v5                                 // 000000013968: 68320B43
	v_mul_u32_u24_dpp v64, v16, v63 quad_perm:[0,0,0,0] row_mask:0xf bank_mask:0xf// 00000001396C: 10807EFA FF000010
	v_add_u32_e32 v2, v64, v59                                 // 000000013974: 68047740
	v_mul_u32_u24_dpp v64, v16, v63 quad_perm:[0,0,0,0] row_mask:0xf bank_mask:0xf// 000000013978: 10807EFA FF000010
	v_add_u32_e32 v55, v64, v60                                // 000000013980: 686E7940
	v_mfma_i32_16x16x32_i8 v[112:115], a[32:33], v[80:81], 0   // 000000013984: D3D70070 0A02A120
	v_mfma_i32_16x16x32_i8 v[112:115], a[34:35], v[82:83], v[112:115]// 00000001398C: D3D70070 0DC2A522
	buffer_load_dwordx4 a[0:3], v22, s[16:19], 0 offen         // 000000013994: E05C1000 80840016
	v_mfma_i32_16x16x32_i8 v[112:115], a[36:37], v[84:85], v[112:115]// 00000001399C: D3D70070 0DC2A924
	v_mfma_i32_16x16x32_i8 v[112:115], a[38:39], v[86:87], v[112:115]// 0000000139A4: D3D70070 0DC2AD26
	buffer_load_dword v17, v1, s[24:27], 0 offen               // 0000000139AC: E0501000 80061101
	v_mfma_i32_16x16x32_i8 v[116:119], a[40:41], v[80:81], 0   // 0000000139B4: D3D70074 0A02A128
	v_mfma_i32_16x16x32_i8 v[116:119], a[42:43], v[82:83], v[116:119]// 0000000139BC: D3D70074 0DD2A52A
	buffer_load_dwordx4 a[4:7], v22, s[16:19], 0 offen offset:1024// 0000000139C4: E05C1400 80840416
	v_mfma_i32_16x16x32_i8 v[116:119], a[44:45], v[84:85], v[116:119]// 0000000139CC: D3D70074 0DD2A92C
	v_mfma_i32_16x16x32_i8 v[116:119], a[46:47], v[86:87], v[116:119]// 0000000139D4: D3D70074 0DD2AD2E
	v_mfma_i32_16x16x32_i8 v[120:123], a[48:49], v[80:81], 0   // 0000000139DC: D3D70078 0A02A130
	v_mfma_i32_16x16x32_i8 v[120:123], a[50:51], v[82:83], v[120:123]// 0000000139E4: D3D70078 0DE2A532
	buffer_load_dwordx4 a[8:11], v23, s[16:19], 0 offen        // 0000000139EC: E05C1000 80840817
	v_mfma_i32_16x16x32_i8 v[120:123], a[52:53], v[84:85], v[120:123]// 0000000139F4: D3D70078 0DE2A934
	v_mfma_i32_16x16x32_i8 v[120:123], a[54:55], v[86:87], v[120:123]// 0000000139FC: D3D70078 0DE2AD36
	v_mfma_i32_16x16x32_i8 v[124:127], a[56:57], v[80:81], 0   // 000000013A04: D3D7007C 0A02A138
	v_mfma_i32_16x16x32_i8 v[124:127], a[58:59], v[82:83], v[124:127]// 000000013A0C: D3D7007C 0DF2A53A
	buffer_load_dwordx4 a[12:15], v23, s[16:19], 0 offen offset:1024// 000000013A14: E05C1400 80840C17
	v_mfma_i32_16x16x32_i8 v[124:127], a[60:61], v[84:85], v[124:127]// 000000013A1C: D3D7007C 0DF2A93C
	v_mfma_i32_16x16x32_i8 v[124:127], a[62:63], v[86:87], v[124:127]// 000000013A24: D3D7007C 0DF2AD3E
	v_mfma_i32_16x16x32_i8 v[128:131], a[32:33], v[88:89], 0   // 000000013A2C: D3D70080 0A02B120
	v_mfma_i32_16x16x32_i8 v[128:131], a[34:35], v[90:91], v[128:131]// 000000013A34: D3D70080 0E02B522
	v_mfma_i32_16x16x32_i8 v[128:131], a[36:37], v[92:93], v[128:131]// 000000013A3C: D3D70080 0E02B924
	v_mfma_i32_16x16x32_i8 v[128:131], a[38:39], v[94:95], v[128:131]// 000000013A44: D3D70080 0E02BD26
	v_mfma_i32_16x16x32_i8 v[132:135], a[40:41], v[88:89], 0   // 000000013A4C: D3D70084 0A02B128
	v_mfma_i32_16x16x32_i8 v[132:135], a[42:43], v[90:91], v[132:135]// 000000013A54: D3D70084 0E12B52A
	v_mfma_i32_16x16x32_i8 v[132:135], a[44:45], v[92:93], v[132:135]// 000000013A5C: D3D70084 0E12B92C
	v_mfma_i32_16x16x32_i8 v[132:135], a[46:47], v[94:95], v[132:135]// 000000013A64: D3D70084 0E12BD2E
	v_mfma_i32_16x16x32_i8 v[136:139], a[48:49], v[88:89], 0   // 000000013A6C: D3D70088 0A02B130
	v_mfma_i32_16x16x32_i8 v[136:139], a[50:51], v[90:91], v[136:139]// 000000013A74: D3D70088 0E22B532
	v_mfma_i32_16x16x32_i8 v[136:139], a[52:53], v[92:93], v[136:139]// 000000013A7C: D3D70088 0E22B934
	v_mfma_i32_16x16x32_i8 v[136:139], a[54:55], v[94:95], v[136:139]// 000000013A84: D3D70088 0E22BD36
	v_mfma_i32_16x16x32_i8 v[140:143], a[56:57], v[88:89], 0   // 000000013A8C: D3D7008C 0A02B138
	v_mfma_i32_16x16x32_i8 v[140:143], a[58:59], v[90:91], v[140:143]// 000000013A94: D3D7008C 0E32B53A
	v_mfma_i32_16x16x32_i8 v[140:143], a[60:61], v[92:93], v[140:143]// 000000013A9C: D3D7008C 0E32B93C
	v_mfma_i32_16x16x32_i8 v[140:143], a[62:63], v[94:95], v[140:143]// 000000013AA4: D3D7008C 0E32BD3E
	v_mfma_i32_16x16x32_i8 v[144:147], a[32:33], v[96:97], 0   // 000000013AAC: D3D70090 0A02C120
	v_mfma_i32_16x16x32_i8 v[144:147], a[34:35], v[98:99], v[144:147]// 000000013AB4: D3D70090 0E42C522
	v_mfma_i32_16x16x32_i8 v[144:147], a[36:37], v[100:101], v[144:147]// 000000013ABC: D3D70090 0E42C924
	v_mfma_i32_16x16x32_i8 v[144:147], a[38:39], v[102:103], v[144:147]// 000000013AC4: D3D70090 0E42CD26
	v_mfma_i32_16x16x32_i8 v[148:151], a[40:41], v[96:97], 0   // 000000013ACC: D3D70094 0A02C128
	v_mfma_i32_16x16x32_i8 v[148:151], a[42:43], v[98:99], v[148:151]// 000000013AD4: D3D70094 0E52C52A
	v_mfma_i32_16x16x32_i8 v[148:151], a[44:45], v[100:101], v[148:151]// 000000013ADC: D3D70094 0E52C92C
	v_mfma_i32_16x16x32_i8 v[148:151], a[46:47], v[102:103], v[148:151]// 000000013AE4: D3D70094 0E52CD2E
	v_mfma_i32_16x16x32_i8 v[152:155], a[48:49], v[96:97], 0   // 000000013AEC: D3D70098 0A02C130
	v_mfma_i32_16x16x32_i8 v[152:155], a[50:51], v[98:99], v[152:155]// 000000013AF4: D3D70098 0E62C532
	v_mfma_i32_16x16x32_i8 v[152:155], a[52:53], v[100:101], v[152:155]// 000000013AFC: D3D70098 0E62C934
	v_mfma_i32_16x16x32_i8 v[152:155], a[54:55], v[102:103], v[152:155]// 000000013B04: D3D70098 0E62CD36
	v_mfma_i32_16x16x32_i8 v[156:159], a[56:57], v[96:97], 0   // 000000013B0C: D3D7009C 0A02C138
	v_mfma_i32_16x16x32_i8 v[156:159], a[58:59], v[98:99], v[156:159]// 000000013B14: D3D7009C 0E72C53A
	v_mfma_i32_16x16x32_i8 v[156:159], a[60:61], v[100:101], v[156:159]// 000000013B1C: D3D7009C 0E72C93C
	v_mfma_i32_16x16x32_i8 v[156:159], a[62:63], v[102:103], v[156:159]// 000000013B24: D3D7009C 0E72CD3E
	buffer_load_dword v42, v2, s[32:35], 0 offen               // 000000013B2C: E0501000 80082A02
	v_mov_b32_dpp v64, v43 row_shr:4 row_mask:0xf bank_mask:0xf// 000000013B34: 7E8002FA FF01142B
	v_mov_b32_dpp v65, v43 row_shl:4 row_mask:0xf bank_mask:0xf// 000000013B3C: 7E8202FA FF01042B
	v_cndmask_b32_e64 v248, v43, v64, s[44:45]                 // 000000013B44: D10000F8 00B2812B
	v_cndmask_b32_e64 v249, v65, v43, s[44:45]                 // 000000013B4C: D10000F9 00B25741
	v_mov_b32_dpp v64, v248 row_shr:8 row_mask:0xf bank_mask:0xf// 000000013B54: 7E8002FA FF0118F8
	v_mov_b32_dpp v65, v248 row_shl:8 row_mask:0xf bank_mask:0xf// 000000013B5C: 7E8202FA FF0108F8
	v_mov_b32_dpp v66, v249 row_shr:8 row_mask:0xf bank_mask:0xf// 000000013B64: 7E8402FA FF0118F9
	v_mov_b32_dpp v67, v249 row_shl:8 row_mask:0xf bank_mask:0xf// 000000013B6C: 7E8602FA FF0108F9
	v_mov_b32_e32 v68, v248                                    // 000000013B74: 7E8803F8
	v_mov_b32_e32 v69, v249                                    // 000000013B78: 7E8A03F9
	v_cndmask_b32_e64 v248, v68, v64, s[42:43]                 // 000000013B7C: D10000F8 00AA8144
	v_cndmask_b32_e64 v250, v68, v65, s[78:79]                 // 000000013B84: D10000FA 013A8344
	v_cndmask_b32_e64 v249, v69, v66, s[42:43]                 // 000000013B8C: D10000F9 00AA8545
	v_cndmask_b32_e64 v251, v69, v67, s[78:79]                 // 000000013B94: D10000FB 013A8745
	v_mov_b32_dpp v64, v58 row_shr:4 row_mask:0xf bank_mask:0xf// 000000013B9C: 7E8002FA FF01143A
	v_mov_b32_dpp v65, v58 row_shl:4 row_mask:0xf bank_mask:0xf// 000000013BA4: 7E8202FA FF01043A
	v_cndmask_b32_e64 v252, v58, v64, s[44:45]                 // 000000013BAC: D10000FC 00B2813A
	v_cndmask_b32_e64 v253, v65, v58, s[44:45]                 // 000000013BB4: D10000FD 00B27541
	v_mov_b32_dpp v64, v252 row_shr:8 row_mask:0xf bank_mask:0xf// 000000013BBC: 7E8002FA FF0118FC
	v_mov_b32_dpp v65, v252 row_shl:8 row_mask:0xf bank_mask:0xf// 000000013BC4: 7E8202FA FF0108FC
	v_mov_b32_dpp v66, v253 row_shr:8 row_mask:0xf bank_mask:0xf// 000000013BCC: 7E8402FA FF0118FD
	v_mov_b32_dpp v67, v253 row_shl:8 row_mask:0xf bank_mask:0xf// 000000013BD4: 7E8602FA FF0108FD
	v_mov_b32_e32 v68, v252                                    // 000000013BDC: 7E8803FC
	v_mov_b32_e32 v69, v253                                    // 000000013BE0: 7E8A03FD
	v_cndmask_b32_e64 v252, v68, v64, s[42:43]                 // 000000013BE4: D10000FC 00AA8144
	v_cndmask_b32_e64 v254, v68, v65, s[78:79]                 // 000000013BEC: D10000FE 013A8344
	v_cndmask_b32_e64 v253, v69, v66, s[42:43]                 // 000000013BF4: D10000FD 00AA8545
	v_cndmask_b32_e64 v255, v69, v67, s[78:79]                 // 000000013BFC: D10000FF 013A8745
	buffer_load_dword v57, v55, s[36:39], 0 offen              // 000000013C04: E0501000 80093937
	v_cvt_f32_i32_e32 v112, v112                               // 000000013C0C: 7EE00B70
	v_cvt_f32_i32_e32 v113, v113                               // 000000013C10: 7EE20B71
	v_cvt_f32_i32_e32 v114, v114                               // 000000013C14: 7EE40B72
	v_cvt_f32_i32_e32 v115, v115                               // 000000013C18: 7EE60B73
	v_cvt_f32_i32_e32 v116, v116                               // 000000013C1C: 7EE80B74
	v_cvt_f32_i32_e32 v117, v117                               // 000000013C20: 7EEA0B75
	v_cvt_f32_i32_e32 v118, v118                               // 000000013C24: 7EEC0B76
	v_cvt_f32_i32_e32 v119, v119                               // 000000013C28: 7EEE0B77
	v_cvt_f32_i32_e32 v120, v120                               // 000000013C2C: 7EF00B78
	v_cvt_f32_i32_e32 v121, v121                               // 000000013C30: 7EF20B79
	v_cvt_f32_i32_e32 v122, v122                               // 000000013C34: 7EF40B7A
	v_cvt_f32_i32_e32 v123, v123                               // 000000013C38: 7EF60B7B
	v_cvt_f32_i32_e32 v124, v124                               // 000000013C3C: 7EF80B7C
	v_cvt_f32_i32_e32 v125, v125                               // 000000013C40: 7EFA0B7D
	v_cvt_f32_i32_e32 v126, v126                               // 000000013C44: 7EFC0B7E
	v_cvt_f32_i32_e32 v127, v127                               // 000000013C48: 7EFE0B7F
	v_mul_f32_e32 v112, v18, v112                              // 000000013C4C: 0AE0E112
	v_mul_f32_e32 v113, v18, v113                              // 000000013C50: 0AE2E312
	v_mul_f32_e32 v114, v18, v114                              // 000000013C54: 0AE4E512
	v_mul_f32_e32 v115, v18, v115                              // 000000013C58: 0AE6E712
	v_mul_f32_e32 v116, v18, v116                              // 000000013C5C: 0AE8E912
	v_mul_f32_e32 v117, v18, v117                              // 000000013C60: 0AEAEB12
	v_mul_f32_e32 v118, v18, v118                              // 000000013C64: 0AECED12
	v_mul_f32_e32 v119, v18, v119                              // 000000013C68: 0AEEEF12
	v_mul_f32_e32 v120, v18, v120                              // 000000013C6C: 0AF0F112
	v_mul_f32_e32 v121, v18, v121                              // 000000013C70: 0AF2F312
	v_mul_f32_e32 v122, v18, v122                              // 000000013C74: 0AF4F512
	v_mul_f32_e32 v123, v18, v123                              // 000000013C78: 0AF6F712
	v_mul_f32_e32 v124, v18, v124                              // 000000013C7C: 0AF8F912
	v_mul_f32_e32 v125, v18, v125                              // 000000013C80: 0AFAFB12
	v_mul_f32_e32 v126, v18, v126                              // 000000013C84: 0AFCFD12
	v_mul_f32_e32 v127, v18, v127                              // 000000013C88: 0AFEFF12
	buffer_load_dwordx4 a[16:19], v24, s[16:19], 0 offen       // 000000013C8C: E05C1000 80841018
	v_mul_f32_dpp v112, v248, v112 quad_perm:[0,0,0,0] row_mask:0xf bank_mask:0xf// 000000013C94: 0AE0E0FA FF0000F8
	v_mul_f32_dpp v113, v248, v113 quad_perm:[1,1,1,1] row_mask:0xf bank_mask:0xf// 000000013C9C: 0AE2E2FA FF0055F8
	v_mul_f32_dpp v114, v248, v114 quad_perm:[2,2,2,2] row_mask:0xf bank_mask:0xf// 000000013CA4: 0AE4E4FA FF00AAF8
	v_mul_f32_dpp v115, v248, v115 quad_perm:[3,3,3,3] row_mask:0xf bank_mask:0xf// 000000013CAC: 0AE6E6FA FF00FFF8
	v_mul_f32_dpp v116, v249, v116 quad_perm:[0,0,0,0] row_mask:0xf bank_mask:0xf// 000000013CB4: 0AE8E8FA FF0000F9
	v_mul_f32_dpp v117, v249, v117 quad_perm:[1,1,1,1] row_mask:0xf bank_mask:0xf// 000000013CBC: 0AEAEAFA FF0055F9
	v_mul_f32_dpp v118, v249, v118 quad_perm:[2,2,2,2] row_mask:0xf bank_mask:0xf// 000000013CC4: 0AECECFA FF00AAF9
	v_mul_f32_dpp v119, v249, v119 quad_perm:[3,3,3,3] row_mask:0xf bank_mask:0xf// 000000013CCC: 0AEEEEFA FF00FFF9
	v_mul_f32_dpp v120, v250, v120 quad_perm:[0,0,0,0] row_mask:0xf bank_mask:0xf// 000000013CD4: 0AF0F0FA FF0000FA
	v_mul_f32_dpp v121, v250, v121 quad_perm:[1,1,1,1] row_mask:0xf bank_mask:0xf// 000000013CDC: 0AF2F2FA FF0055FA
	v_mul_f32_dpp v122, v250, v122 quad_perm:[2,2,2,2] row_mask:0xf bank_mask:0xf// 000000013CE4: 0AF4F4FA FF00AAFA
	v_mul_f32_dpp v123, v250, v123 quad_perm:[3,3,3,3] row_mask:0xf bank_mask:0xf// 000000013CEC: 0AF6F6FA FF00FFFA
	v_mul_f32_dpp v124, v251, v124 quad_perm:[0,0,0,0] row_mask:0xf bank_mask:0xf// 000000013CF4: 0AF8F8FA FF0000FB
	v_mul_f32_dpp v125, v251, v125 quad_perm:[1,1,1,1] row_mask:0xf bank_mask:0xf// 000000013CFC: 0AFAFAFA FF0055FB
	v_mul_f32_dpp v126, v251, v126 quad_perm:[2,2,2,2] row_mask:0xf bank_mask:0xf// 000000013D04: 0AFCFCFA FF00AAFB
	v_mul_f32_dpp v127, v251, v127 quad_perm:[3,3,3,3] row_mask:0xf bank_mask:0xf// 000000013D0C: 0AFEFEFA FF00FFFB
	buffer_load_dwordx4 a[20:23], v24, s[16:19], 0 offen offset:1024// 000000013D14: E05C1400 80841418
	s_cmp_le_i32 s90, s89                                      // 000000013D1C: BF05595A
	s_cbranch_scc1 label_473A                                  // 000000013D20: BF850071
	v_mov_b32_e32 v66, 0xff800000                              // 000000013D24: 7E8402FF FF800000
	s_mov_b32 s60, s90                                         // 000000013D2C: BEBC005A
	s_add_u32 s61, s89, 0xff                                   // 000000013D30: 803DFF59 000000FF
	v_mov_b32_e32 v64, s61                                     // 000000013D38: 7E80023D
	v_lshrrev_b32_e32 v240, 4, v0                              // 000000013D3C: 21E00084
	v_mul_i32_i24_e32 v240, 4, v240                            // 000000013D40: 0DE1E084
	v_add_u32_e32 v240, s60, v240                              // 000000013D44: 69E1E03C
	s_mov_b32 s61, 0                                           // 000000013D48: BEBD0080
	s_mul_i32 s60, 16, s7                                      // 000000013D4C: 923C0790
	v_sub_u32_e64 v240, v240, s61                              // 000000013D50: D13500F0 00007BF0
	v_add_u32_e32 v240, s60, v240                              // 000000013D58: 69E1E03C
	v_add_u32_e32 v241, 1, v240                                // 000000013D5C: 69E3E081
	v_add_u32_e32 v242, 2, v240                                // 000000013D60: 69E5E082
	v_add_u32_e32 v243, 3, v240                                // 000000013D64: 69E7E083
	v_cmp_le_u32_e64 s[40:41], v240, v64                       // 000000013D68: D0CB0028 000281F0
	v_add_u32_e32 v240, 64, v240                               // 000000013D70: 69E1E0C0
	s_nop 0                                                    // 000000013D74: BF800000
	v_cndmask_b32_e64 v112, v66, v112, s[40:41]                // 000000013D78: D1000070 00A2E142
	v_cmp_le_u32_e64 s[40:41], v241, v64                       // 000000013D80: D0CB0028 000281F1
	v_add_u32_e32 v241, 64, v241                               // 000000013D88: 69E3E2C0
	s_nop 0                                                    // 000000013D8C: BF800000
	v_cndmask_b32_e64 v113, v66, v113, s[40:41]                // 000000013D90: D1000071 00A2E342
	v_cmp_le_u32_e64 s[40:41], v242, v64                       // 000000013D98: D0CB0028 000281F2
	v_add_u32_e32 v242, 64, v242                               // 000000013DA0: 69E5E4C0
	s_nop 0                                                    // 000000013DA4: BF800000
	v_cndmask_b32_e64 v114, v66, v114, s[40:41]                // 000000013DA8: D1000072 00A2E542
	v_cmp_le_u32_e64 s[40:41], v243, v64                       // 000000013DB0: D0CB0028 000281F3
	v_add_u32_e32 v243, 64, v243                               // 000000013DB8: 69E7E6C0
	s_nop 0                                                    // 000000013DBC: BF800000
	v_cndmask_b32_e64 v115, v66, v115, s[40:41]                // 000000013DC0: D1000073 00A2E742
	v_cmp_le_u32_e64 s[40:41], v240, v64                       // 000000013DC8: D0CB0028 000281F0
	v_add_u32_e32 v240, 64, v240                               // 000000013DD0: 69E1E0C0
	s_nop 0                                                    // 000000013DD4: BF800000
	v_cndmask_b32_e64 v116, v66, v116, s[40:41]                // 000000013DD8: D1000074 00A2E942
	v_cmp_le_u32_e64 s[40:41], v241, v64                       // 000000013DE0: D0CB0028 000281F1
	v_add_u32_e32 v241, 64, v241                               // 000000013DE8: 69E3E2C0
	s_nop 0                                                    // 000000013DEC: BF800000
	v_cndmask_b32_e64 v117, v66, v117, s[40:41]                // 000000013DF0: D1000075 00A2EB42
	v_cmp_le_u32_e64 s[40:41], v242, v64                       // 000000013DF8: D0CB0028 000281F2
	v_add_u32_e32 v242, 64, v242                               // 000000013E00: 69E5E4C0
	s_nop 0                                                    // 000000013E04: BF800000
	v_cndmask_b32_e64 v118, v66, v118, s[40:41]                // 000000013E08: D1000076 00A2ED42
	v_cmp_le_u32_e64 s[40:41], v243, v64                       // 000000013E10: D0CB0028 000281F3
	v_add_u32_e32 v243, 64, v243                               // 000000013E18: 69E7E6C0
	s_nop 0                                                    // 000000013E1C: BF800000
	v_cndmask_b32_e64 v119, v66, v119, s[40:41]                // 000000013E20: D1000077 00A2EF42
	v_cmp_le_u32_e64 s[40:41], v240, v64                       // 000000013E28: D0CB0028 000281F0
	v_add_u32_e32 v240, 64, v240                               // 000000013E30: 69E1E0C0
	s_nop 0                                                    // 000000013E34: BF800000
	v_cndmask_b32_e64 v120, v66, v120, s[40:41]                // 000000013E38: D1000078 00A2F142
	v_cmp_le_u32_e64 s[40:41], v241, v64                       // 000000013E40: D0CB0028 000281F1
	v_add_u32_e32 v241, 64, v241                               // 000000013E48: 69E3E2C0
	s_nop 0                                                    // 000000013E4C: BF800000
	v_cndmask_b32_e64 v121, v66, v121, s[40:41]                // 000000013E50: D1000079 00A2F342
	v_cmp_le_u32_e64 s[40:41], v242, v64                       // 000000013E58: D0CB0028 000281F2
	v_add_u32_e32 v242, 64, v242                               // 000000013E60: 69E5E4C0
	s_nop 0                                                    // 000000013E64: BF800000
	v_cndmask_b32_e64 v122, v66, v122, s[40:41]                // 000000013E68: D100007A 00A2F542
	v_cmp_le_u32_e64 s[40:41], v243, v64                       // 000000013E70: D0CB0028 000281F3
	v_add_u32_e32 v243, 64, v243                               // 000000013E78: 69E7E6C0
	s_nop 0                                                    // 000000013E7C: BF800000
	v_cndmask_b32_e64 v123, v66, v123, s[40:41]                // 000000013E80: D100007B 00A2F742
	v_cmp_le_u32_e64 s[40:41], v240, v64                       // 000000013E88: D0CB0028 000281F0
	v_add_u32_e32 v240, 64, v240                               // 000000013E90: 69E1E0C0
	s_nop 0                                                    // 000000013E94: BF800000
	v_cndmask_b32_e64 v124, v66, v124, s[40:41]                // 000000013E98: D100007C 00A2F942
	v_cmp_le_u32_e64 s[40:41], v241, v64                       // 000000013EA0: D0CB0028 000281F1
	v_add_u32_e32 v241, 64, v241                               // 000000013EA8: 69E3E2C0
	s_nop 0                                                    // 000000013EAC: BF800000
	v_cndmask_b32_e64 v125, v66, v125, s[40:41]                // 000000013EB0: D100007D 00A2FB42
	v_cmp_le_u32_e64 s[40:41], v242, v64                       // 000000013EB8: D0CB0028 000281F2
	v_add_u32_e32 v242, 64, v242                               // 000000013EC0: 69E5E4C0
	s_nop 0                                                    // 000000013EC4: BF800000
	v_cndmask_b32_e64 v126, v66, v126, s[40:41]                // 000000013EC8: D100007E 00A2FD42
	v_cmp_le_u32_e64 s[40:41], v243, v64                       // 000000013ED0: D0CB0028 000281F3
	v_add_u32_e32 v243, 64, v243                               // 000000013ED8: 69E7E6C0
	s_nop 0                                                    // 000000013EDC: BF800000
	v_cndmask_b32_e64 v127, v66, v127, s[40:41]                // 000000013EE0: D100007F 00A2FF42

0000000000013ee8 <label_473A>:
	v_mov_b32_e32 v48, v112                                    // 000000013EE8: 7E600370
	v_max3_f32 v48, v112, v113, v48                            // 000000013EEC: D1D30030 04C2E370
	v_max3_f32 v48, v114, v115, v48                            // 000000013EF4: D1D30030 04C2E772
	v_max3_f32 v48, v116, v117, v48                            // 000000013EFC: D1D30030 04C2EB74
	v_max3_f32 v48, v118, v119, v48                            // 000000013F04: D1D30030 04C2EF76
	v_max3_f32 v48, v120, v121, v48                            // 000000013F0C: D1D30030 04C2F378
	v_max3_f32 v48, v122, v123, v48                            // 000000013F14: D1D30030 04C2F77A
	v_max3_f32 v48, v124, v125, v48                            // 000000013F1C: D1D30030 04C2FB7C
	v_max3_f32 v48, v126, v127, v48                            // 000000013F24: D1D30030 04C2FF7E
	ds_write_b32 v8, v48 offset:16896                          // 000000013F2C: D81A4200 00003008
	buffer_load_dwordx4 a[24:27], v25, s[16:19], 0 offen       // 000000013F34: E05C1000 80841819
	v_mul_u32_u24_dpp v64, v16, v54 row_newbcast:1 row_mask:0xf bank_mask:0xf// 000000013F3C: 10806CFA FF015110
	v_mul_u32_u24_dpp v65, v16, v54 row_newbcast:5 row_mask:0xf bank_mask:0xf// 000000013F44: 10826CFA FF015510
	v_mul_u32_u24_dpp v66, v16, v54 row_newbcast:9 row_mask:0xf bank_mask:0xf// 000000013F4C: 10846CFA FF015910
	v_mul_u32_u24_dpp v67, v16, v54 row_newbcast:13 row_mask:0xf bank_mask:0xf// 000000013F54: 10866CFA FF015D10
	v_add_u32_e32 v30, v64, v6                                 // 000000013F5C: 683C0D40
	v_add_u32_e32 v31, v65, v6                                 // 000000013F60: 683E0D41
	v_add_u32_e32 v32, v66, v6                                 // 000000013F64: 68400D42
	v_add_u32_e32 v33, v67, v6                                 // 000000013F68: 68420D43
	v_mul_f32_e32 v208, v49, v208                              // 000000013F6C: 0BA1A131
	v_mul_f32_e32 v209, v49, v209                              // 000000013F70: 0BA3A331
	v_mul_f32_e32 v210, v49, v210                              // 000000013F74: 0BA5A531
	v_mul_f32_e32 v211, v49, v211                              // 000000013F78: 0BA7A731
	v_mul_f32_e32 v212, v49, v212                              // 000000013F7C: 0BA9A931
	v_mul_f32_e32 v213, v49, v213                              // 000000013F80: 0BABAB31
	v_mul_f32_e32 v214, v49, v214                              // 000000013F84: 0BADAD31
	v_mul_f32_e32 v215, v49, v215                              // 000000013F88: 0BAFAF31
	s_waitcnt lgkmcnt(0)                                       // 000000013F8C: BF8CC07F
	s_barrier                                                  // 000000013F90: BF8A0000
	ds_read_b32 v64, v7 offset:16896                           // 000000013F94: D86C4200 40000007
	ds_read_b32 v65, v7 offset:16960                           // 000000013F9C: D86C4240 41000007
	ds_read_b32 v66, v7 offset:17024                           // 000000013FA4: D86C4280 42000007
	ds_read_b32 v67, v7 offset:17088                           // 000000013FAC: D86C42C0 43000007
	ds_read_b32 v68, v7 offset:17152                           // 000000013FB4: D86C4300 44000007
	ds_read_b32 v69, v7 offset:17216                           // 000000013FBC: D86C4340 45000007
	ds_read_b32 v70, v7 offset:17280                           // 000000013FC4: D86C4380 46000007
	ds_read_b32 v71, v7 offset:17344                           // 000000013FCC: D86C43C0 47000007
	ds_read_b32 v72, v7 offset:17408                           // 000000013FD4: D86C4400 48000007
	ds_read_b32 v73, v7 offset:17472                           // 000000013FDC: D86C4440 49000007
	ds_read_b32 v74, v7 offset:17536                           // 000000013FE4: D86C4480 4A000007
	ds_read_b32 v75, v7 offset:17600                           // 000000013FEC: D86C44C0 4B000007
	ds_read_b32 v76, v7 offset:17664                           // 000000013FF4: D86C4500 4C000007
	ds_read_b32 v77, v7 offset:17728                           // 000000013FFC: D86C4540 4D000007
	ds_read_b32 v78, v7 offset:17792                           // 000000014004: D86C4580 4E000007
	ds_read_b32 v79, v7 offset:17856                           // 00000001400C: D86C45C0 4F000007
	buffer_load_dwordx4 a[28:31], v25, s[16:19], 0 offen offset:1024// 000000014014: E05C1400 80841C19
	v_cvt_f32_i32_e32 v176, v176                               // 00000001401C: 7F600BB0
	v_cvt_f32_i32_e32 v177, v177                               // 000000014020: 7F620BB1
	v_cvt_f32_i32_e32 v178, v178                               // 000000014024: 7F640BB2
	v_cvt_f32_i32_e32 v179, v179                               // 000000014028: 7F660BB3
	v_cvt_f32_i32_e32 v180, v180                               // 00000001402C: 7F680BB4
	v_cvt_f32_i32_e32 v181, v181                               // 000000014030: 7F6A0BB5
	v_cvt_f32_i32_e32 v182, v182                               // 000000014034: 7F6C0BB6
	v_cvt_f32_i32_e32 v183, v183                               // 000000014038: 7F6E0BB7
	v_mul_f32_e32 v176, v44, v176                              // 00000001403C: 0B61612C
	v_mul_f32_e32 v177, v44, v177                              // 000000014040: 0B63632C
	v_mul_f32_e32 v178, v44, v178                              // 000000014044: 0B65652C
	v_mul_f32_e32 v179, v44, v179                              // 000000014048: 0B67672C
	v_mul_f32_e32 v180, v44, v180                              // 00000001404C: 0B69692C
	v_mul_f32_e32 v181, v44, v181                              // 000000014050: 0B6B6B2C
	v_mul_f32_e32 v182, v44, v182                              // 000000014054: 0B6D6D2C
	v_mul_f32_e32 v183, v44, v183                              // 000000014058: 0B6F6F2C
	s_waitcnt lgkmcnt(0)                                       // 00000001405C: BF8CC07F
	v_max3_f32 v48, v64, v65, v48                              // 000000014060: D1D30030 04C28340
	v_max3_f32 v48, v66, v67, v48                              // 000000014068: D1D30030 04C28742
	v_max3_f32 v48, v68, v69, v48                              // 000000014070: D1D30030 04C28B44
	v_max3_f32 v48, v70, v71, v48                              // 000000014078: D1D30030 04C28F46
	v_max3_f32 v48, v72, v73, v48                              // 000000014080: D1D30030 04C29348
	v_max3_f32 v48, v74, v75, v48                              // 000000014088: D1D30030 04C2974A
	v_max3_f32 v48, v76, v77, v48                              // 000000014090: D1D30030 04C29B4C
	v_max3_f32 v48, v78, v79, v48                              // 000000014098: D1D30030 04C29F4E
	buffer_load_dwordx4 a[64:67], v30, s[20:23], 0 offen       // 0000000140A0: E05C1000 8085401E
	v_mov_b32_e32 v64, 0xff800000                              // 0000000140A8: 7E8002FF FF800000
	v_cmp_eq_u32_e64 s[40:41], v64, v11                        // 0000000140B0: D0CA0028 00021740
	s_nop 1                                                    // 0000000140B8: BF800001
	v_max_f32_e32 v15, v48, v11                                // 0000000140BC: 161E1730
	v_mul_f32_e32 v53, s64, v15                                // 0000000140C0: 0A6A1E40
	v_fma_f32 v112, v112, s64, -v53                            // 0000000140C4: D1CB0070 84D48170
	v_fma_f32 v113, v113, s64, -v53                            // 0000000140CC: D1CB0071 84D48171
	v_fma_f32 v114, v114, s64, -v53                            // 0000000140D4: D1CB0072 84D48172
	v_fma_f32 v115, v115, s64, -v53                            // 0000000140DC: D1CB0073 84D48173
	v_fma_f32 v116, v116, s64, -v53                            // 0000000140E4: D1CB0074 84D48174
	v_fma_f32 v117, v117, s64, -v53                            // 0000000140EC: D1CB0075 84D48175
	v_fma_f32 v118, v118, s64, -v53                            // 0000000140F4: D1CB0076 84D48176
	v_fma_f32 v119, v119, s64, -v53                            // 0000000140FC: D1CB0077 84D48177
	v_fma_f32 v120, v120, s64, -v53                            // 000000014104: D1CB0078 84D48178
	v_fma_f32 v121, v121, s64, -v53                            // 00000001410C: D1CB0079 84D48179
	v_fma_f32 v122, v122, s64, -v53                            // 000000014114: D1CB007A 84D4817A
	v_fma_f32 v123, v123, s64, -v53                            // 00000001411C: D1CB007B 84D4817B
	v_fma_f32 v124, v124, s64, -v53                            // 000000014124: D1CB007C 84D4817C
	v_fma_f32 v125, v125, s64, -v53                            // 00000001412C: D1CB007D 84D4817D
	v_fma_f32 v126, v126, s64, -v53                            // 000000014134: D1CB007E 84D4817E
	v_fma_f32 v127, v127, s64, -v53                            // 00000001413C: D1CB007F 84D4817F
	buffer_load_dwordx4 a[68:71], v31, s[20:23], 0 offen       // 000000014144: E05C1000 8085441F
	v_exp_f32_e32 v112, v112                                   // 00000001414C: 7EE04170
	v_exp_f32_e32 v113, v113                                   // 000000014150: 7EE24171
	v_exp_f32_e32 v114, v114                                   // 000000014154: 7EE44172
	v_exp_f32_e32 v115, v115                                   // 000000014158: 7EE64173
	v_exp_f32_e32 v116, v116                                   // 00000001415C: 7EE84174
	v_exp_f32_e32 v117, v117                                   // 000000014160: 7EEA4175
	v_exp_f32_e32 v118, v118                                   // 000000014164: 7EEC4176
	v_exp_f32_e32 v119, v119                                   // 000000014168: 7EEE4177
	v_exp_f32_e32 v120, v120                                   // 00000001416C: 7EF04178
	v_exp_f32_e32 v121, v121                                   // 000000014170: 7EF24179
	v_exp_f32_e32 v122, v122                                   // 000000014174: 7EF4417A
	v_exp_f32_e32 v123, v123                                   // 000000014178: 7EF6417B
	v_exp_f32_e32 v124, v124                                   // 00000001417C: 7EF8417C
	v_exp_f32_e32 v125, v125                                   // 000000014180: 7EFA417D
	v_exp_f32_e32 v126, v126                                   // 000000014184: 7EFC417E
	v_exp_f32_e32 v127, v127                                   // 000000014188: 7EFE417F
	buffer_load_dwordx4 a[72:75], v32, s[20:23], 0 offen       // 00000001418C: E05C1000 80854820
	v_mul_f32_dpp v240, v252, v112 quad_perm:[0,0,0,0] row_mask:0xf bank_mask:0xf// 000000014194: 0BE0E0FA FF0000FC
	v_mul_f32_dpp v241, v252, v113 quad_perm:[1,1,1,1] row_mask:0xf bank_mask:0xf// 00000001419C: 0BE2E2FA FF0055FC
	v_mul_f32_dpp v242, v252, v114 quad_perm:[2,2,2,2] row_mask:0xf bank_mask:0xf// 0000000141A4: 0BE4E4FA FF00AAFC
	v_mul_f32_dpp v243, v252, v115 quad_perm:[3,3,3,3] row_mask:0xf bank_mask:0xf// 0000000141AC: 0BE6E6FA FF00FFFC
	v_mul_f32_dpp v244, v253, v116 quad_perm:[0,0,0,0] row_mask:0xf bank_mask:0xf// 0000000141B4: 0BE8E8FA FF0000FD
	v_mul_f32_dpp v245, v253, v117 quad_perm:[1,1,1,1] row_mask:0xf bank_mask:0xf// 0000000141BC: 0BEAEAFA FF0055FD
	v_mul_f32_dpp v246, v253, v118 quad_perm:[2,2,2,2] row_mask:0xf bank_mask:0xf// 0000000141C4: 0BECECFA FF00AAFD
	v_mul_f32_dpp v247, v253, v119 quad_perm:[3,3,3,3] row_mask:0xf bank_mask:0xf// 0000000141CC: 0BEEEEFA FF00FFFD
	v_mul_f32_dpp v248, v254, v120 quad_perm:[0,0,0,0] row_mask:0xf bank_mask:0xf// 0000000141D4: 0BF0F0FA FF0000FE
	v_mul_f32_dpp v249, v254, v121 quad_perm:[1,1,1,1] row_mask:0xf bank_mask:0xf// 0000000141DC: 0BF2F2FA FF0055FE
	v_mul_f32_dpp v250, v254, v122 quad_perm:[2,2,2,2] row_mask:0xf bank_mask:0xf// 0000000141E4: 0BF4F4FA FF00AAFE
	v_mul_f32_dpp v251, v254, v123 quad_perm:[3,3,3,3] row_mask:0xf bank_mask:0xf// 0000000141EC: 0BF6F6FA FF00FFFE
	v_mul_f32_dpp v252, v255, v124 quad_perm:[0,0,0,0] row_mask:0xf bank_mask:0xf// 0000000141F4: 0BF8F8FA FF0000FF
	v_mul_f32_dpp v253, v255, v125 quad_perm:[1,1,1,1] row_mask:0xf bank_mask:0xf// 0000000141FC: 0BFAFAFA FF0055FF
	v_mul_f32_dpp v254, v255, v126 quad_perm:[2,2,2,2] row_mask:0xf bank_mask:0xf// 000000014204: 0BFCFCFA FF00AAFF
	v_mul_f32_dpp v255, v255, v127 quad_perm:[3,3,3,3] row_mask:0xf bank_mask:0xf// 00000001420C: 0BFEFEFA FF00FFFF
	v_mov_b32_e32 v48, 0x358637bd                              // 000000014214: 7E6002FF 358637BD
	v_max3_f32 v48, |v240|, |v241|, v48                        // 00000001421C: D1D30330 04C3E3F0
	v_max3_f32 v48, |v242|, |v243|, v48                        // 000000014224: D1D30330 04C3E7F2
	v_max3_f32 v48, |v244|, |v245|, v48                        // 00000001422C: D1D30330 04C3EBF4
	v_max3_f32 v48, |v246|, |v247|, v48                        // 000000014234: D1D30330 04C3EFF6
	v_max3_f32 v48, |v248|, |v249|, v48                        // 00000001423C: D1D30330 04C3F3F8
	v_max3_f32 v48, |v250|, |v251|, v48                        // 000000014244: D1D30330 04C3F7FA
	v_max3_f32 v48, |v252|, |v253|, v48                        // 00000001424C: D1D30330 04C3FBFC
	v_max3_f32 v48, |v254|, |v255|, v48                        // 000000014254: D1D30330 04C3FFFE
	buffer_load_dwordx4 a[76:79], v33, s[20:23], 0 offen       // 00000001425C: E05C1000 80854C21
	ds_write_b32 v8, v48 offset:20992                          // 000000014264: D81A5200 00003008
	v_sub_f32_e32 v49, v11, v15                                // 00000001426C: 04621F0B
	v_cndmask_b32_e64 v49, v49, 0, s[40:41]                    // 000000014270: D1000031 00A10131
	v_mov_b32_e32 v11, v15                                     // 000000014278: 7E16030F
	v_mul_f32_e32 v49, s64, v49                                // 00000001427C: 0A626240
	v_exp_f32_e32 v49, v49                                     // 000000014280: 7E624131
	s_waitcnt lgkmcnt(0)                                       // 000000014284: BF8CC07F
	s_barrier                                                  // 000000014288: BF8A0000
	ds_read_b32 v64, v7 offset:20992                           // 00000001428C: D86C5200 40000007
	ds_read_b32 v65, v7 offset:21056                           // 000000014294: D86C5240 41000007
	ds_read_b32 v66, v7 offset:21120                           // 00000001429C: D86C5280 42000007
	ds_read_b32 v67, v7 offset:21184                           // 0000000142A4: D86C52C0 43000007
	ds_read_b32 v68, v7 offset:21248                           // 0000000142AC: D86C5300 44000007
	ds_read_b32 v69, v7 offset:21312                           // 0000000142B4: D86C5340 45000007
	ds_read_b32 v70, v7 offset:21376                           // 0000000142BC: D86C5380 46000007
	ds_read_b32 v71, v7 offset:21440                           // 0000000142C4: D86C53C0 47000007
	ds_read_b32 v72, v7 offset:21504                           // 0000000142CC: D86C5400 48000007
	ds_read_b32 v73, v7 offset:21568                           // 0000000142D4: D86C5440 49000007
	ds_read_b32 v74, v7 offset:21632                           // 0000000142DC: D86C5480 4A000007
	ds_read_b32 v75, v7 offset:21696                           // 0000000142E4: D86C54C0 4B000007
	ds_read_b32 v76, v7 offset:21760                           // 0000000142EC: D86C5500 4C000007
	ds_read_b32 v77, v7 offset:21824                           // 0000000142F4: D86C5540 4D000007
	ds_read_b32 v78, v7 offset:21888                           // 0000000142FC: D86C5580 4E000007
	ds_read_b32 v79, v7 offset:21952                           // 000000014304: D86C55C0 4F000007
	v_mul_f32_e32 v38, v49, v38                                // 00000001430C: 0A4C4D31
	v_mov_b32_e32 v15, v112                                    // 000000014310: 7E1E0370
	v_add_f32_e32 v15, v113, v15                               // 000000014314: 021E1F71
	v_add_f32_e32 v15, v114, v15                               // 000000014318: 021E1F72
	v_add_f32_e32 v15, v115, v15                               // 00000001431C: 021E1F73
	v_add_f32_e32 v15, v116, v15                               // 000000014320: 021E1F74
	v_add_f32_e32 v15, v117, v15                               // 000000014324: 021E1F75
	v_add_f32_e32 v15, v118, v15                               // 000000014328: 021E1F76
	v_add_f32_e32 v15, v119, v15                               // 00000001432C: 021E1F77
	v_add_f32_e32 v15, v120, v15                               // 000000014330: 021E1F78
	v_add_f32_e32 v15, v121, v15                               // 000000014334: 021E1F79
	v_add_f32_e32 v15, v122, v15                               // 000000014338: 021E1F7A
	v_add_f32_e32 v15, v123, v15                               // 00000001433C: 021E1F7B
	v_add_f32_e32 v15, v124, v15                               // 000000014340: 021E1F7C
	v_add_f32_e32 v15, v125, v15                               // 000000014344: 021E1F7D
	v_add_f32_e32 v15, v126, v15                               // 000000014348: 021E1F7E
	v_add_f32_e32 v15, v127, v15                               // 00000001434C: 021E1F7F
	v_add_f32_e32 v38, v15, v38                                // 000000014350: 024C4D0F
	s_waitcnt lgkmcnt(0)                                       // 000000014354: BF8CC07F
	v_max3_f32 v48, |v64|, |v65|, v48                          // 000000014358: D1D30330 04C28340
	v_max3_f32 v48, |v66|, |v67|, v48                          // 000000014360: D1D30330 04C28742
	v_max3_f32 v48, |v68|, |v69|, v48                          // 000000014368: D1D30330 04C28B44
	v_max3_f32 v48, |v70|, |v71|, v48                          // 000000014370: D1D30330 04C28F46
	v_max3_f32 v48, |v72|, |v73|, v48                          // 000000014378: D1D30330 04C29348
	v_max3_f32 v48, |v74|, |v75|, v48                          // 000000014380: D1D30330 04C2974A
	v_max3_f32 v48, |v76|, |v77|, v48                          // 000000014388: D1D30330 04C29B4C
	v_max3_f32 v48, |v78|, |v79|, v48                          // 000000014390: D1D30330 04C29F4E
	s_nop 2                                                    // 000000014398: BF800002
	v_rcp_f32_e32 v48, v48                                     // 00000001439C: 7E604530
	s_nop 1                                                    // 0000000143A0: BF800001
	v_mul_f32_e32 v48, 0x42fe0000, v48                         // 0000000143A4: 0A6060FF 42FE0000
	v_mul_f32_e32 v112, v48, v240                              // 0000000143AC: 0AE1E130
	v_mul_f32_e32 v113, v48, v241                              // 0000000143B0: 0AE3E330
	v_mul_f32_e32 v114, v48, v242                              // 0000000143B4: 0AE5E530
	v_mul_f32_e32 v115, v48, v243                              // 0000000143B8: 0AE7E730
	v_mul_f32_e32 v116, v48, v244                              // 0000000143BC: 0AE9E930
	v_mul_f32_e32 v117, v48, v245                              // 0000000143C0: 0AEBEB30
	v_mul_f32_e32 v118, v48, v246                              // 0000000143C4: 0AEDED30
	v_mul_f32_e32 v119, v48, v247                              // 0000000143C8: 0AEFEF30
	v_mul_f32_e32 v120, v48, v248                              // 0000000143CC: 0AF1F130
	v_mul_f32_e32 v121, v48, v249                              // 0000000143D0: 0AF3F330
	v_mul_f32_e32 v122, v48, v250                              // 0000000143D4: 0AF5F530
	v_mul_f32_e32 v123, v48, v251                              // 0000000143D8: 0AF7F730
	v_mul_f32_e32 v124, v48, v252                              // 0000000143DC: 0AF9F930
	v_mul_f32_e32 v125, v48, v253                              // 0000000143E0: 0AFBFB30
	v_mul_f32_e32 v126, v48, v254                              // 0000000143E4: 0AFDFD30
	v_mul_f32_e32 v127, v48, v255                              // 0000000143E8: 0AFFFF30
	v_cvt_i32_f32_e32 v112, v112                               // 0000000143EC: 7EE01170
	v_cvt_i32_f32_e32 v113, v113                               // 0000000143F0: 7EE21171
	v_cvt_i32_f32_e32 v114, v114                               // 0000000143F4: 7EE41172
	v_cvt_i32_f32_e32 v115, v115                               // 0000000143F8: 7EE61173
	v_cvt_i32_f32_e32 v116, v116                               // 0000000143FC: 7EE81174
	v_cvt_i32_f32_e32 v117, v117                               // 000000014400: 7EEA1175
	v_cvt_i32_f32_e32 v118, v118                               // 000000014404: 7EEC1176
	v_cvt_i32_f32_e32 v119, v119                               // 000000014408: 7EEE1177
	v_cvt_i32_f32_e32 v120, v120                               // 00000001440C: 7EF01178
	v_cvt_i32_f32_e32 v121, v121                               // 000000014410: 7EF21179
	v_cvt_i32_f32_e32 v122, v122                               // 000000014414: 7EF4117A
	v_cvt_i32_f32_e32 v123, v123                               // 000000014418: 7EF6117B
	v_cvt_i32_f32_e32 v124, v124                               // 00000001441C: 7EF8117C
	v_cvt_i32_f32_e32 v125, v125                               // 000000014420: 7EFA117D
	v_cvt_i32_f32_e32 v126, v126                               // 000000014424: 7EFC117E
	v_cvt_i32_f32_e32 v127, v127                               // 000000014428: 7EFE117F
	v_perm_b32 v112, v113, v112, s53                           // 00000001442C: D1ED0070 00D6E171
	v_perm_b32 v112, v114, v112, s54                           // 000000014434: D1ED0070 00DAE172
	v_perm_b32 v112, v115, v112, s55                           // 00000001443C: D1ED0070 00DEE173
	v_perm_b32 v113, v117, v116, s53                           // 000000014444: D1ED0071 00D6E975
	v_perm_b32 v113, v118, v113, s54                           // 00000001444C: D1ED0071 00DAE376
	v_perm_b32 v113, v119, v113, s55                           // 000000014454: D1ED0071 00DEE377
	v_perm_b32 v114, v121, v120, s53                           // 00000001445C: D1ED0072 00D6F179
	v_perm_b32 v114, v122, v114, s54                           // 000000014464: D1ED0072 00DAE57A
	v_perm_b32 v114, v123, v114, s55                           // 00000001446C: D1ED0072 00DEE57B
	v_perm_b32 v115, v125, v124, s53                           // 000000014474: D1ED0073 00D6F97D
	v_perm_b32 v115, v126, v115, s54                           // 00000001447C: D1ED0073 00DAE77E
	v_perm_b32 v115, v127, v115, s55                           // 000000014484: D1ED0073 00DEE77F
	ds_write_b32 v10, v112 offset:25088                        // 00000001448C: D81A6200 0000700A
	ds_write_b32 v10, v113 offset:26112                        // 000000014494: D81A6600 0000710A
	ds_write_b32 v10, v114 offset:27136                        // 00000001449C: D81A6A00 0000720A
	ds_write_b32 v10, v115 offset:28160                        // 0000000144A4: D81A6E00 0000730A
	v_add_f32_e32 v208, v208, v176                             // 0000000144AC: 03A161D0
	v_add_f32_e32 v209, v209, v177                             // 0000000144B0: 03A363D1
	v_add_f32_e32 v210, v210, v178                             // 0000000144B4: 03A565D2
	v_add_f32_e32 v211, v211, v179                             // 0000000144B8: 03A767D3
	v_add_f32_e32 v212, v212, v180                             // 0000000144BC: 03A969D4
	v_add_f32_e32 v213, v213, v181                             // 0000000144C0: 03AB6BD5
	v_add_f32_e32 v214, v214, v182                             // 0000000144C4: 03AD6DD6
	v_add_f32_e32 v215, v215, v183                             // 0000000144C8: 03AF6FD7
	v_rcp_f32_e32 v44, v48                                     // 0000000144CC: 7E584530
	s_waitcnt lgkmcnt(0)                                       // 0000000144D0: BF8CC07F
	s_barrier                                                  // 0000000144D4: BF8A0000
	ds_read_b64 v[112:113], v9 offset:25088                    // 0000000144D8: D8EC6200 70000009
	ds_read_b64 v[114:115], v9 offset:25216                    // 0000000144E0: D8EC6280 72000009
	ds_read_b64 v[116:117], v9 offset:26112                    // 0000000144E8: D8EC6600 74000009
	ds_read_b64 v[118:119], v9 offset:26240                    // 0000000144F0: D8EC6680 76000009
	ds_read_b64 v[120:121], v9 offset:27136                    // 0000000144F8: D8EC6A00 78000009
	ds_read_b64 v[122:123], v9 offset:27264                    // 000000014500: D8EC6A80 7A000009
	ds_read_b64 v[124:125], v9 offset:28160                    // 000000014508: D8EC6E00 7C000009
	ds_read_b64 v[126:127], v9 offset:28288                    // 000000014510: D8EC6E80 7E000009
	v_mov_b32_dpp v64, v43 row_shr:4 row_mask:0xf bank_mask:0xf// 000000014518: 7E8002FA FF01142B
	v_mov_b32_dpp v65, v43 row_shl:4 row_mask:0xf bank_mask:0xf// 000000014520: 7E8202FA FF01042B
	v_cndmask_b32_e64 v248, v43, v64, s[44:45]                 // 000000014528: D10000F8 00B2812B
	v_cndmask_b32_e64 v249, v65, v43, s[44:45]                 // 000000014530: D10000F9 00B25741
	v_mov_b32_dpp v64, v248 row_shr:8 row_mask:0xf bank_mask:0xf// 000000014538: 7E8002FA FF0118F8
	v_mov_b32_dpp v65, v248 row_shl:8 row_mask:0xf bank_mask:0xf// 000000014540: 7E8202FA FF0108F8
	v_mov_b32_dpp v66, v249 row_shr:8 row_mask:0xf bank_mask:0xf// 000000014548: 7E8402FA FF0118F9
	v_mov_b32_dpp v67, v249 row_shl:8 row_mask:0xf bank_mask:0xf// 000000014550: 7E8602FA FF0108F9
	v_mov_b32_e32 v68, v248                                    // 000000014558: 7E8803F8
	v_mov_b32_e32 v69, v249                                    // 00000001455C: 7E8A03F9
	v_cndmask_b32_e64 v248, v68, v64, s[42:43]                 // 000000014560: D10000F8 00AA8144
	v_cndmask_b32_e64 v250, v68, v65, s[78:79]                 // 000000014568: D10000FA 013A8344
	v_cndmask_b32_e64 v249, v69, v66, s[42:43]                 // 000000014570: D10000F9 00AA8545
	v_cndmask_b32_e64 v251, v69, v67, s[78:79]                 // 000000014578: D10000FB 013A8745
	v_mov_b32_dpp v64, v58 row_shr:4 row_mask:0xf bank_mask:0xf// 000000014580: 7E8002FA FF01143A
	v_mov_b32_dpp v65, v58 row_shl:4 row_mask:0xf bank_mask:0xf// 000000014588: 7E8202FA FF01043A
	v_cndmask_b32_e64 v252, v58, v64, s[44:45]                 // 000000014590: D10000FC 00B2813A
	v_cndmask_b32_e64 v253, v65, v58, s[44:45]                 // 000000014598: D10000FD 00B27541
	v_mov_b32_dpp v64, v252 row_shr:8 row_mask:0xf bank_mask:0xf// 0000000145A0: 7E8002FA FF0118FC
	v_mov_b32_dpp v65, v252 row_shl:8 row_mask:0xf bank_mask:0xf// 0000000145A8: 7E8202FA FF0108FC
	v_mov_b32_dpp v66, v253 row_shr:8 row_mask:0xf bank_mask:0xf// 0000000145B0: 7E8402FA FF0118FD
	v_mov_b32_dpp v67, v253 row_shl:8 row_mask:0xf bank_mask:0xf// 0000000145B8: 7E8602FA FF0108FD
	v_mov_b32_e32 v68, v252                                    // 0000000145C0: 7E8803FC
	v_mov_b32_e32 v69, v253                                    // 0000000145C4: 7E8A03FD
	v_cndmask_b32_e64 v252, v68, v64, s[42:43]                 // 0000000145C8: D10000FC 00AA8144
	v_cndmask_b32_e64 v254, v68, v65, s[78:79]                 // 0000000145D0: D10000FE 013A8344
	v_cndmask_b32_e64 v253, v69, v66, s[42:43]                 // 0000000145D8: D10000FD 00AA8545
	v_cndmask_b32_e64 v255, v69, v67, s[78:79]                 // 0000000145E0: D10000FF 013A8745
	v_cvt_f32_i32_e32 v128, v128                               // 0000000145E8: 7F000B80
	v_cvt_f32_i32_e32 v129, v129                               // 0000000145EC: 7F020B81
	v_cvt_f32_i32_e32 v130, v130                               // 0000000145F0: 7F040B82
	v_cvt_f32_i32_e32 v131, v131                               // 0000000145F4: 7F060B83
	v_cvt_f32_i32_e32 v132, v132                               // 0000000145F8: 7F080B84
	v_cvt_f32_i32_e32 v133, v133                               // 0000000145FC: 7F0A0B85
	v_cvt_f32_i32_e32 v134, v134                               // 000000014600: 7F0C0B86
	v_cvt_f32_i32_e32 v135, v135                               // 000000014604: 7F0E0B87
	v_cvt_f32_i32_e32 v136, v136                               // 000000014608: 7F100B88
	v_cvt_f32_i32_e32 v137, v137                               // 00000001460C: 7F120B89
	v_cvt_f32_i32_e32 v138, v138                               // 000000014610: 7F140B8A
	v_cvt_f32_i32_e32 v139, v139                               // 000000014614: 7F160B8B
	v_cvt_f32_i32_e32 v140, v140                               // 000000014618: 7F180B8C
	v_cvt_f32_i32_e32 v141, v141                               // 00000001461C: 7F1A0B8D
	v_cvt_f32_i32_e32 v142, v142                               // 000000014620: 7F1C0B8E
	v_cvt_f32_i32_e32 v143, v143                               // 000000014624: 7F1E0B8F
	v_mul_f32_e32 v128, v19, v128                              // 000000014628: 0B010113
	v_mul_f32_e32 v129, v19, v129                              // 00000001462C: 0B030313
	v_mul_f32_e32 v130, v19, v130                              // 000000014630: 0B050513
	v_mul_f32_e32 v131, v19, v131                              // 000000014634: 0B070713
	v_mul_f32_e32 v132, v19, v132                              // 000000014638: 0B090913
	v_mul_f32_e32 v133, v19, v133                              // 00000001463C: 0B0B0B13
	v_mul_f32_e32 v134, v19, v134                              // 000000014640: 0B0D0D13
	v_mul_f32_e32 v135, v19, v135                              // 000000014644: 0B0F0F13
	v_mul_f32_e32 v136, v19, v136                              // 000000014648: 0B111113
	v_mul_f32_e32 v137, v19, v137                              // 00000001464C: 0B131313
	v_mul_f32_e32 v138, v19, v138                              // 000000014650: 0B151513
	v_mul_f32_e32 v139, v19, v139                              // 000000014654: 0B171713
	v_mul_f32_e32 v140, v19, v140                              // 000000014658: 0B191913
	v_mul_f32_e32 v141, v19, v141                              // 00000001465C: 0B1B1B13
	v_mul_f32_e32 v142, v19, v142                              // 000000014660: 0B1D1D13
	v_mul_f32_e32 v143, v19, v143                              // 000000014664: 0B1F1F13
	v_mul_f32_dpp v128, v248, v128 quad_perm:[0,0,0,0] row_mask:0xf bank_mask:0xf// 000000014668: 0B0100FA FF0000F8
	v_mul_f32_dpp v129, v248, v129 quad_perm:[1,1,1,1] row_mask:0xf bank_mask:0xf// 000000014670: 0B0302FA FF0055F8
	v_mul_f32_dpp v130, v248, v130 quad_perm:[2,2,2,2] row_mask:0xf bank_mask:0xf// 000000014678: 0B0504FA FF00AAF8
	v_mul_f32_dpp v131, v248, v131 quad_perm:[3,3,3,3] row_mask:0xf bank_mask:0xf// 000000014680: 0B0706FA FF00FFF8
	v_mul_f32_dpp v132, v249, v132 quad_perm:[0,0,0,0] row_mask:0xf bank_mask:0xf// 000000014688: 0B0908FA FF0000F9
	v_mul_f32_dpp v133, v249, v133 quad_perm:[1,1,1,1] row_mask:0xf bank_mask:0xf// 000000014690: 0B0B0AFA FF0055F9
	v_mul_f32_dpp v134, v249, v134 quad_perm:[2,2,2,2] row_mask:0xf bank_mask:0xf// 000000014698: 0B0D0CFA FF00AAF9
	v_mul_f32_dpp v135, v249, v135 quad_perm:[3,3,3,3] row_mask:0xf bank_mask:0xf// 0000000146A0: 0B0F0EFA FF00FFF9
	v_mul_f32_dpp v136, v250, v136 quad_perm:[0,0,0,0] row_mask:0xf bank_mask:0xf// 0000000146A8: 0B1110FA FF0000FA
	v_mul_f32_dpp v137, v250, v137 quad_perm:[1,1,1,1] row_mask:0xf bank_mask:0xf// 0000000146B0: 0B1312FA FF0055FA
	v_mul_f32_dpp v138, v250, v138 quad_perm:[2,2,2,2] row_mask:0xf bank_mask:0xf// 0000000146B8: 0B1514FA FF00AAFA
	v_mul_f32_dpp v139, v250, v139 quad_perm:[3,3,3,3] row_mask:0xf bank_mask:0xf// 0000000146C0: 0B1716FA FF00FFFA
	v_mul_f32_dpp v140, v251, v140 quad_perm:[0,0,0,0] row_mask:0xf bank_mask:0xf// 0000000146C8: 0B1918FA FF0000FB
	v_mul_f32_dpp v141, v251, v141 quad_perm:[1,1,1,1] row_mask:0xf bank_mask:0xf// 0000000146D0: 0B1B1AFA FF0055FB
	v_mul_f32_dpp v142, v251, v142 quad_perm:[2,2,2,2] row_mask:0xf bank_mask:0xf// 0000000146D8: 0B1D1CFA FF00AAFB
	v_mul_f32_dpp v143, v251, v143 quad_perm:[3,3,3,3] row_mask:0xf bank_mask:0xf// 0000000146E0: 0B1F1EFA FF00FFFB
	s_cmp_le_i32 s90, s89                                      // 0000000146E8: BF05595A
	s_cbranch_scc1 label_49AD                                  // 0000000146EC: BF850071
	v_mov_b32_e32 v66, 0xff800000                              // 0000000146F0: 7E8402FF FF800000
	s_mov_b32 s60, s90                                         // 0000000146F8: BEBC005A
	s_add_u32 s61, s89, 0xff                                   // 0000000146FC: 803DFF59 000000FF
	v_mov_b32_e32 v64, s61                                     // 000000014704: 7E80023D
	v_lshrrev_b32_e32 v240, 4, v0                              // 000000014708: 21E00084
	v_mul_i32_i24_e32 v240, 4, v240                            // 00000001470C: 0DE1E084
	v_add_u32_e32 v240, s60, v240                              // 000000014710: 69E1E03C
	s_mov_b32 s61, 1                                           // 000000014714: BEBD0081
	s_mul_i32 s60, 16, s7                                      // 000000014718: 923C0790
	v_sub_u32_e64 v240, v240, s61                              // 00000001471C: D13500F0 00007BF0
	v_add_u32_e32 v240, s60, v240                              // 000000014724: 69E1E03C
	v_add_u32_e32 v241, 1, v240                                // 000000014728: 69E3E081
	v_add_u32_e32 v242, 2, v240                                // 00000001472C: 69E5E082
	v_add_u32_e32 v243, 3, v240                                // 000000014730: 69E7E083
	v_cmp_le_u32_e64 s[40:41], v240, v64                       // 000000014734: D0CB0028 000281F0
	v_add_u32_e32 v240, 64, v240                               // 00000001473C: 69E1E0C0
	s_nop 0                                                    // 000000014740: BF800000
	v_cndmask_b32_e64 v128, v66, v128, s[40:41]                // 000000014744: D1000080 00A30142
	v_cmp_le_u32_e64 s[40:41], v241, v64                       // 00000001474C: D0CB0028 000281F1
	v_add_u32_e32 v241, 64, v241                               // 000000014754: 69E3E2C0
	s_nop 0                                                    // 000000014758: BF800000
	v_cndmask_b32_e64 v129, v66, v129, s[40:41]                // 00000001475C: D1000081 00A30342
	v_cmp_le_u32_e64 s[40:41], v242, v64                       // 000000014764: D0CB0028 000281F2
	v_add_u32_e32 v242, 64, v242                               // 00000001476C: 69E5E4C0
	s_nop 0                                                    // 000000014770: BF800000
	v_cndmask_b32_e64 v130, v66, v130, s[40:41]                // 000000014774: D1000082 00A30542
	v_cmp_le_u32_e64 s[40:41], v243, v64                       // 00000001477C: D0CB0028 000281F3
	v_add_u32_e32 v243, 64, v243                               // 000000014784: 69E7E6C0
	s_nop 0                                                    // 000000014788: BF800000
	v_cndmask_b32_e64 v131, v66, v131, s[40:41]                // 00000001478C: D1000083 00A30742
	v_cmp_le_u32_e64 s[40:41], v240, v64                       // 000000014794: D0CB0028 000281F0
	v_add_u32_e32 v240, 64, v240                               // 00000001479C: 69E1E0C0
	s_nop 0                                                    // 0000000147A0: BF800000
	v_cndmask_b32_e64 v132, v66, v132, s[40:41]                // 0000000147A4: D1000084 00A30942
	v_cmp_le_u32_e64 s[40:41], v241, v64                       // 0000000147AC: D0CB0028 000281F1
	v_add_u32_e32 v241, 64, v241                               // 0000000147B4: 69E3E2C0
	s_nop 0                                                    // 0000000147B8: BF800000
	v_cndmask_b32_e64 v133, v66, v133, s[40:41]                // 0000000147BC: D1000085 00A30B42
	v_cmp_le_u32_e64 s[40:41], v242, v64                       // 0000000147C4: D0CB0028 000281F2
	v_add_u32_e32 v242, 64, v242                               // 0000000147CC: 69E5E4C0
	s_nop 0                                                    // 0000000147D0: BF800000
	v_cndmask_b32_e64 v134, v66, v134, s[40:41]                // 0000000147D4: D1000086 00A30D42
	v_cmp_le_u32_e64 s[40:41], v243, v64                       // 0000000147DC: D0CB0028 000281F3
	v_add_u32_e32 v243, 64, v243                               // 0000000147E4: 69E7E6C0
	s_nop 0                                                    // 0000000147E8: BF800000
	v_cndmask_b32_e64 v135, v66, v135, s[40:41]                // 0000000147EC: D1000087 00A30F42
	v_cmp_le_u32_e64 s[40:41], v240, v64                       // 0000000147F4: D0CB0028 000281F0
	v_add_u32_e32 v240, 64, v240                               // 0000000147FC: 69E1E0C0
	s_nop 0                                                    // 000000014800: BF800000
	v_cndmask_b32_e64 v136, v66, v136, s[40:41]                // 000000014804: D1000088 00A31142
	v_cmp_le_u32_e64 s[40:41], v241, v64                       // 00000001480C: D0CB0028 000281F1
	v_add_u32_e32 v241, 64, v241                               // 000000014814: 69E3E2C0
	s_nop 0                                                    // 000000014818: BF800000
	v_cndmask_b32_e64 v137, v66, v137, s[40:41]                // 00000001481C: D1000089 00A31342
	v_cmp_le_u32_e64 s[40:41], v242, v64                       // 000000014824: D0CB0028 000281F2
	v_add_u32_e32 v242, 64, v242                               // 00000001482C: 69E5E4C0
	s_nop 0                                                    // 000000014830: BF800000
	v_cndmask_b32_e64 v138, v66, v138, s[40:41]                // 000000014834: D100008A 00A31542
	v_cmp_le_u32_e64 s[40:41], v243, v64                       // 00000001483C: D0CB0028 000281F3
	v_add_u32_e32 v243, 64, v243                               // 000000014844: 69E7E6C0
	s_nop 0                                                    // 000000014848: BF800000
	v_cndmask_b32_e64 v139, v66, v139, s[40:41]                // 00000001484C: D100008B 00A31742
	v_cmp_le_u32_e64 s[40:41], v240, v64                       // 000000014854: D0CB0028 000281F0
	v_add_u32_e32 v240, 64, v240                               // 00000001485C: 69E1E0C0
	s_nop 0                                                    // 000000014860: BF800000
	v_cndmask_b32_e64 v140, v66, v140, s[40:41]                // 000000014864: D100008C 00A31942
	v_cmp_le_u32_e64 s[40:41], v241, v64                       // 00000001486C: D0CB0028 000281F1
	v_add_u32_e32 v241, 64, v241                               // 000000014874: 69E3E2C0
	s_nop 0                                                    // 000000014878: BF800000
	v_cndmask_b32_e64 v141, v66, v141, s[40:41]                // 00000001487C: D100008D 00A31B42
	v_cmp_le_u32_e64 s[40:41], v242, v64                       // 000000014884: D0CB0028 000281F2
	v_add_u32_e32 v242, 64, v242                               // 00000001488C: 69E5E4C0
	s_nop 0                                                    // 000000014890: BF800000
	v_cndmask_b32_e64 v142, v66, v142, s[40:41]                // 000000014894: D100008E 00A31D42
	v_cmp_le_u32_e64 s[40:41], v243, v64                       // 00000001489C: D0CB0028 000281F3
	v_add_u32_e32 v243, 64, v243                               // 0000000148A4: 69E7E6C0
	s_nop 0                                                    // 0000000148A8: BF800000
	v_cndmask_b32_e64 v143, v66, v143, s[40:41]                // 0000000148AC: D100008F 00A31F42

00000000000148b4 <label_49AD>:
	v_mov_b32_e32 v48, v128                                    // 0000000148B4: 7E600380
	v_max3_f32 v48, v128, v129, v48                            // 0000000148B8: D1D30030 04C30380
	v_max3_f32 v48, v130, v131, v48                            // 0000000148C0: D1D30030 04C30782
	v_max3_f32 v48, v132, v133, v48                            // 0000000148C8: D1D30030 04C30B84
	v_max3_f32 v48, v134, v135, v48                            // 0000000148D0: D1D30030 04C30F86
	v_max3_f32 v48, v136, v137, v48                            // 0000000148D8: D1D30030 04C31388
	v_max3_f32 v48, v138, v139, v48                            // 0000000148E0: D1D30030 04C3178A
	v_max3_f32 v48, v140, v141, v48                            // 0000000148E8: D1D30030 04C31B8C
	v_max3_f32 v48, v142, v143, v48                            // 0000000148F0: D1D30030 04C31F8E
	ds_write_b32 v8, v48 offset:16896                          // 0000000148F8: D81A4200 00003008
	v_mul_f32_e32 v216, v50, v216                              // 000000014900: 0BB1B132
	v_mul_f32_e32 v217, v50, v217                              // 000000014904: 0BB3B332
	v_mul_f32_e32 v218, v50, v218                              // 000000014908: 0BB5B532
	v_mul_f32_e32 v219, v50, v219                              // 00000001490C: 0BB7B732
	v_mul_f32_e32 v220, v50, v220                              // 000000014910: 0BB9B932
	v_mul_f32_e32 v221, v50, v221                              // 000000014914: 0BBBBB32
	v_mul_f32_e32 v222, v50, v222                              // 000000014918: 0BBDBD32
	v_mul_f32_e32 v223, v50, v223                              // 00000001491C: 0BBFBF32
	s_waitcnt lgkmcnt(0)                                       // 000000014920: BF8CC07F
	s_barrier                                                  // 000000014924: BF8A0000
	ds_read_b32 v64, v7 offset:16896                           // 000000014928: D86C4200 40000007
	ds_read_b32 v65, v7 offset:16960                           // 000000014930: D86C4240 41000007
	ds_read_b32 v66, v7 offset:17024                           // 000000014938: D86C4280 42000007
	ds_read_b32 v67, v7 offset:17088                           // 000000014940: D86C42C0 43000007
	ds_read_b32 v68, v7 offset:17152                           // 000000014948: D86C4300 44000007
	ds_read_b32 v69, v7 offset:17216                           // 000000014950: D86C4340 45000007
	ds_read_b32 v70, v7 offset:17280                           // 000000014958: D86C4380 46000007
	ds_read_b32 v71, v7 offset:17344                           // 000000014960: D86C43C0 47000007
	ds_read_b32 v72, v7 offset:17408                           // 000000014968: D86C4400 48000007
	ds_read_b32 v73, v7 offset:17472                           // 000000014970: D86C4440 49000007
	ds_read_b32 v74, v7 offset:17536                           // 000000014978: D86C4480 4A000007
	ds_read_b32 v75, v7 offset:17600                           // 000000014980: D86C44C0 4B000007
	ds_read_b32 v76, v7 offset:17664                           // 000000014988: D86C4500 4C000007
	ds_read_b32 v77, v7 offset:17728                           // 000000014990: D86C4540 4D000007
	ds_read_b32 v78, v7 offset:17792                           // 000000014998: D86C4580 4E000007
	ds_read_b32 v79, v7 offset:17856                           // 0000000149A0: D86C45C0 4F000007
	v_cvt_f32_i32_e32 v184, v184                               // 0000000149A8: 7F700BB8
	v_cvt_f32_i32_e32 v185, v185                               // 0000000149AC: 7F720BB9
	v_cvt_f32_i32_e32 v186, v186                               // 0000000149B0: 7F740BBA
	v_cvt_f32_i32_e32 v187, v187                               // 0000000149B4: 7F760BBB
	v_cvt_f32_i32_e32 v188, v188                               // 0000000149B8: 7F780BBC
	v_cvt_f32_i32_e32 v189, v189                               // 0000000149BC: 7F7A0BBD
	v_cvt_f32_i32_e32 v190, v190                               // 0000000149C0: 7F7C0BBE
	v_cvt_f32_i32_e32 v191, v191                               // 0000000149C4: 7F7E0BBF
	v_mul_f32_e32 v184, v45, v184                              // 0000000149C8: 0B71712D
	v_mul_f32_e32 v185, v45, v185                              // 0000000149CC: 0B73732D
	v_mul_f32_e32 v186, v45, v186                              // 0000000149D0: 0B75752D
	v_mul_f32_e32 v187, v45, v187                              // 0000000149D4: 0B77772D
	v_mul_f32_e32 v188, v45, v188                              // 0000000149D8: 0B79792D
	v_mul_f32_e32 v189, v45, v189                              // 0000000149DC: 0B7B7B2D
	v_mul_f32_e32 v190, v45, v190                              // 0000000149E0: 0B7D7D2D
	v_mul_f32_e32 v191, v45, v191                              // 0000000149E4: 0B7F7F2D
	s_waitcnt lgkmcnt(0)                                       // 0000000149E8: BF8CC07F
	v_max3_f32 v48, v64, v65, v48                              // 0000000149EC: D1D30030 04C28340
	v_max3_f32 v48, v66, v67, v48                              // 0000000149F4: D1D30030 04C28742
	v_max3_f32 v48, v68, v69, v48                              // 0000000149FC: D1D30030 04C28B44
	v_max3_f32 v48, v70, v71, v48                              // 000000014A04: D1D30030 04C28F46
	v_max3_f32 v48, v72, v73, v48                              // 000000014A0C: D1D30030 04C29348
	v_max3_f32 v48, v74, v75, v48                              // 000000014A14: D1D30030 04C2974A
	v_max3_f32 v48, v76, v77, v48                              // 000000014A1C: D1D30030 04C29B4C
	v_max3_f32 v48, v78, v79, v48                              // 000000014A24: D1D30030 04C29F4E
	v_mov_b32_e32 v64, 0xff800000                              // 000000014A2C: 7E8002FF FF800000
	v_cmp_eq_u32_e64 s[40:41], v64, v12                        // 000000014A34: D0CA0028 00021940
	s_nop 1                                                    // 000000014A3C: BF800001
	v_max_f32_e32 v15, v48, v12                                // 000000014A40: 161E1930
	v_mul_f32_e32 v53, s64, v15                                // 000000014A44: 0A6A1E40
	v_fma_f32 v128, v128, s64, -v53                            // 000000014A48: D1CB0080 84D48180
	v_fma_f32 v129, v129, s64, -v53                            // 000000014A50: D1CB0081 84D48181
	v_fma_f32 v130, v130, s64, -v53                            // 000000014A58: D1CB0082 84D48182
	v_fma_f32 v131, v131, s64, -v53                            // 000000014A60: D1CB0083 84D48183
	v_fma_f32 v132, v132, s64, -v53                            // 000000014A68: D1CB0084 84D48184
	v_fma_f32 v133, v133, s64, -v53                            // 000000014A70: D1CB0085 84D48185
	v_fma_f32 v134, v134, s64, -v53                            // 000000014A78: D1CB0086 84D48186
	v_fma_f32 v135, v135, s64, -v53                            // 000000014A80: D1CB0087 84D48187
	v_fma_f32 v136, v136, s64, -v53                            // 000000014A88: D1CB0088 84D48188
	v_fma_f32 v137, v137, s64, -v53                            // 000000014A90: D1CB0089 84D48189
	v_fma_f32 v138, v138, s64, -v53                            // 000000014A98: D1CB008A 84D4818A
	v_fma_f32 v139, v139, s64, -v53                            // 000000014AA0: D1CB008B 84D4818B
	v_fma_f32 v140, v140, s64, -v53                            // 000000014AA8: D1CB008C 84D4818C
	v_fma_f32 v141, v141, s64, -v53                            // 000000014AB0: D1CB008D 84D4818D
	v_fma_f32 v142, v142, s64, -v53                            // 000000014AB8: D1CB008E 84D4818E
	v_fma_f32 v143, v143, s64, -v53                            // 000000014AC0: D1CB008F 84D4818F
	v_exp_f32_e32 v128, v128                                   // 000000014AC8: 7F004180
	v_exp_f32_e32 v129, v129                                   // 000000014ACC: 7F024181
	v_exp_f32_e32 v130, v130                                   // 000000014AD0: 7F044182
	v_exp_f32_e32 v131, v131                                   // 000000014AD4: 7F064183
	v_exp_f32_e32 v132, v132                                   // 000000014AD8: 7F084184
	v_exp_f32_e32 v133, v133                                   // 000000014ADC: 7F0A4185
	v_exp_f32_e32 v134, v134                                   // 000000014AE0: 7F0C4186
	v_exp_f32_e32 v135, v135                                   // 000000014AE4: 7F0E4187
	v_exp_f32_e32 v136, v136                                   // 000000014AE8: 7F104188
	v_exp_f32_e32 v137, v137                                   // 000000014AEC: 7F124189
	v_exp_f32_e32 v138, v138                                   // 000000014AF0: 7F14418A
	v_exp_f32_e32 v139, v139                                   // 000000014AF4: 7F16418B
	v_exp_f32_e32 v140, v140                                   // 000000014AF8: 7F18418C
	v_exp_f32_e32 v141, v141                                   // 000000014AFC: 7F1A418D
	v_exp_f32_e32 v142, v142                                   // 000000014B00: 7F1C418E
	v_exp_f32_e32 v143, v143                                   // 000000014B04: 7F1E418F
	v_mul_f32_dpp v240, v252, v128 quad_perm:[0,0,0,0] row_mask:0xf bank_mask:0xf// 000000014B08: 0BE100FA FF0000FC
	v_mul_f32_dpp v241, v252, v129 quad_perm:[1,1,1,1] row_mask:0xf bank_mask:0xf// 000000014B10: 0BE302FA FF0055FC
	v_mul_f32_dpp v242, v252, v130 quad_perm:[2,2,2,2] row_mask:0xf bank_mask:0xf// 000000014B18: 0BE504FA FF00AAFC
	v_mul_f32_dpp v243, v252, v131 quad_perm:[3,3,3,3] row_mask:0xf bank_mask:0xf// 000000014B20: 0BE706FA FF00FFFC
	v_mul_f32_dpp v244, v253, v132 quad_perm:[0,0,0,0] row_mask:0xf bank_mask:0xf// 000000014B28: 0BE908FA FF0000FD
	v_mul_f32_dpp v245, v253, v133 quad_perm:[1,1,1,1] row_mask:0xf bank_mask:0xf// 000000014B30: 0BEB0AFA FF0055FD
	v_mul_f32_dpp v246, v253, v134 quad_perm:[2,2,2,2] row_mask:0xf bank_mask:0xf// 000000014B38: 0BED0CFA FF00AAFD
	v_mul_f32_dpp v247, v253, v135 quad_perm:[3,3,3,3] row_mask:0xf bank_mask:0xf// 000000014B40: 0BEF0EFA FF00FFFD
	v_mul_f32_dpp v248, v254, v136 quad_perm:[0,0,0,0] row_mask:0xf bank_mask:0xf// 000000014B48: 0BF110FA FF0000FE
	v_mul_f32_dpp v249, v254, v137 quad_perm:[1,1,1,1] row_mask:0xf bank_mask:0xf// 000000014B50: 0BF312FA FF0055FE
	v_mul_f32_dpp v250, v254, v138 quad_perm:[2,2,2,2] row_mask:0xf bank_mask:0xf// 000000014B58: 0BF514FA FF00AAFE
	v_mul_f32_dpp v251, v254, v139 quad_perm:[3,3,3,3] row_mask:0xf bank_mask:0xf// 000000014B60: 0BF716FA FF00FFFE
	v_mul_f32_dpp v252, v255, v140 quad_perm:[0,0,0,0] row_mask:0xf bank_mask:0xf// 000000014B68: 0BF918FA FF0000FF
	v_mul_f32_dpp v253, v255, v141 quad_perm:[1,1,1,1] row_mask:0xf bank_mask:0xf// 000000014B70: 0BFB1AFA FF0055FF
	v_mul_f32_dpp v254, v255, v142 quad_perm:[2,2,2,2] row_mask:0xf bank_mask:0xf// 000000014B78: 0BFD1CFA FF00AAFF
	v_mul_f32_dpp v255, v255, v143 quad_perm:[3,3,3,3] row_mask:0xf bank_mask:0xf// 000000014B80: 0BFF1EFA FF00FFFF
	v_mov_b32_e32 v48, 0x358637bd                              // 000000014B88: 7E6002FF 358637BD
	v_max3_f32 v48, |v240|, |v241|, v48                        // 000000014B90: D1D30330 04C3E3F0
	v_max3_f32 v48, |v242|, |v243|, v48                        // 000000014B98: D1D30330 04C3E7F2
	v_max3_f32 v48, |v244|, |v245|, v48                        // 000000014BA0: D1D30330 04C3EBF4
	v_max3_f32 v48, |v246|, |v247|, v48                        // 000000014BA8: D1D30330 04C3EFF6
	v_max3_f32 v48, |v248|, |v249|, v48                        // 000000014BB0: D1D30330 04C3F3F8
	v_max3_f32 v48, |v250|, |v251|, v48                        // 000000014BB8: D1D30330 04C3F7FA
	v_max3_f32 v48, |v252|, |v253|, v48                        // 000000014BC0: D1D30330 04C3FBFC
	v_max3_f32 v48, |v254|, |v255|, v48                        // 000000014BC8: D1D30330 04C3FFFE
	ds_write_b32 v8, v48 offset:20992                          // 000000014BD0: D81A5200 00003008
	v_sub_f32_e32 v50, v12, v15                                // 000000014BD8: 04641F0C
	v_cndmask_b32_e64 v50, v50, 0, s[40:41]                    // 000000014BDC: D1000032 00A10132
	v_mov_b32_e32 v12, v15                                     // 000000014BE4: 7E18030F
	v_mul_f32_e32 v50, s64, v50                                // 000000014BE8: 0A646440
	v_exp_f32_e32 v50, v50                                     // 000000014BEC: 7E644132
	s_waitcnt lgkmcnt(0)                                       // 000000014BF0: BF8CC07F
	s_barrier                                                  // 000000014BF4: BF8A0000
	ds_read_b32 v64, v7 offset:20992                           // 000000014BF8: D86C5200 40000007
	ds_read_b32 v65, v7 offset:21056                           // 000000014C00: D86C5240 41000007
	ds_read_b32 v66, v7 offset:21120                           // 000000014C08: D86C5280 42000007
	ds_read_b32 v67, v7 offset:21184                           // 000000014C10: D86C52C0 43000007
	ds_read_b32 v68, v7 offset:21248                           // 000000014C18: D86C5300 44000007
	ds_read_b32 v69, v7 offset:21312                           // 000000014C20: D86C5340 45000007
	ds_read_b32 v70, v7 offset:21376                           // 000000014C28: D86C5380 46000007
	ds_read_b32 v71, v7 offset:21440                           // 000000014C30: D86C53C0 47000007
	ds_read_b32 v72, v7 offset:21504                           // 000000014C38: D86C5400 48000007
	ds_read_b32 v73, v7 offset:21568                           // 000000014C40: D86C5440 49000007
	ds_read_b32 v74, v7 offset:21632                           // 000000014C48: D86C5480 4A000007
	ds_read_b32 v75, v7 offset:21696                           // 000000014C50: D86C54C0 4B000007
	ds_read_b32 v76, v7 offset:21760                           // 000000014C58: D86C5500 4C000007
	ds_read_b32 v77, v7 offset:21824                           // 000000014C60: D86C5540 4D000007
	ds_read_b32 v78, v7 offset:21888                           // 000000014C68: D86C5580 4E000007
	ds_read_b32 v79, v7 offset:21952                           // 000000014C70: D86C55C0 4F000007
	v_mul_f32_e32 v39, v50, v39                                // 000000014C78: 0A4E4F32
	v_mov_b32_e32 v15, v128                                    // 000000014C7C: 7E1E0380
	v_add_f32_e32 v15, v129, v15                               // 000000014C80: 021E1F81
	v_add_f32_e32 v15, v130, v15                               // 000000014C84: 021E1F82
	v_add_f32_e32 v15, v131, v15                               // 000000014C88: 021E1F83
	v_add_f32_e32 v15, v132, v15                               // 000000014C8C: 021E1F84
	v_add_f32_e32 v15, v133, v15                               // 000000014C90: 021E1F85
	v_add_f32_e32 v15, v134, v15                               // 000000014C94: 021E1F86
	v_add_f32_e32 v15, v135, v15                               // 000000014C98: 021E1F87
	v_add_f32_e32 v15, v136, v15                               // 000000014C9C: 021E1F88
	v_add_f32_e32 v15, v137, v15                               // 000000014CA0: 021E1F89
	v_add_f32_e32 v15, v138, v15                               // 000000014CA4: 021E1F8A
	v_add_f32_e32 v15, v139, v15                               // 000000014CA8: 021E1F8B
	v_add_f32_e32 v15, v140, v15                               // 000000014CAC: 021E1F8C
	v_add_f32_e32 v15, v141, v15                               // 000000014CB0: 021E1F8D
	v_add_f32_e32 v15, v142, v15                               // 000000014CB4: 021E1F8E
	v_add_f32_e32 v15, v143, v15                               // 000000014CB8: 021E1F8F
	v_add_f32_e32 v39, v15, v39                                // 000000014CBC: 024E4F0F
	s_waitcnt lgkmcnt(0)                                       // 000000014CC0: BF8CC07F
	v_max3_f32 v48, |v64|, |v65|, v48                          // 000000014CC4: D1D30330 04C28340
	v_max3_f32 v48, |v66|, |v67|, v48                          // 000000014CCC: D1D30330 04C28742
	v_max3_f32 v48, |v68|, |v69|, v48                          // 000000014CD4: D1D30330 04C28B44
	v_max3_f32 v48, |v70|, |v71|, v48                          // 000000014CDC: D1D30330 04C28F46
	v_max3_f32 v48, |v72|, |v73|, v48                          // 000000014CE4: D1D30330 04C29348
	v_max3_f32 v48, |v74|, |v75|, v48                          // 000000014CEC: D1D30330 04C2974A
	v_max3_f32 v48, |v76|, |v77|, v48                          // 000000014CF4: D1D30330 04C29B4C
	v_max3_f32 v48, |v78|, |v79|, v48                          // 000000014CFC: D1D30330 04C29F4E
	s_nop 2                                                    // 000000014D04: BF800002
	v_rcp_f32_e32 v48, v48                                     // 000000014D08: 7E604530
	s_nop 1                                                    // 000000014D0C: BF800001
	v_mul_f32_e32 v48, 0x42fe0000, v48                         // 000000014D10: 0A6060FF 42FE0000
	v_mul_f32_e32 v128, v48, v240                              // 000000014D18: 0B01E130
	v_mul_f32_e32 v129, v48, v241                              // 000000014D1C: 0B03E330
	v_mul_f32_e32 v130, v48, v242                              // 000000014D20: 0B05E530
	v_mul_f32_e32 v131, v48, v243                              // 000000014D24: 0B07E730
	v_mul_f32_e32 v132, v48, v244                              // 000000014D28: 0B09E930
	v_mul_f32_e32 v133, v48, v245                              // 000000014D2C: 0B0BEB30
	v_mul_f32_e32 v134, v48, v246                              // 000000014D30: 0B0DED30
	v_mul_f32_e32 v135, v48, v247                              // 000000014D34: 0B0FEF30
	v_mul_f32_e32 v136, v48, v248                              // 000000014D38: 0B11F130
	v_mul_f32_e32 v137, v48, v249                              // 000000014D3C: 0B13F330
	v_mul_f32_e32 v138, v48, v250                              // 000000014D40: 0B15F530
	v_mul_f32_e32 v139, v48, v251                              // 000000014D44: 0B17F730
	v_mul_f32_e32 v140, v48, v252                              // 000000014D48: 0B19F930
	v_mul_f32_e32 v141, v48, v253                              // 000000014D4C: 0B1BFB30
	v_mul_f32_e32 v142, v48, v254                              // 000000014D50: 0B1DFD30
	v_mul_f32_e32 v143, v48, v255                              // 000000014D54: 0B1FFF30
	v_cvt_i32_f32_e32 v128, v128                               // 000000014D58: 7F001180
	v_cvt_i32_f32_e32 v129, v129                               // 000000014D5C: 7F021181
	v_cvt_i32_f32_e32 v130, v130                               // 000000014D60: 7F041182
	v_cvt_i32_f32_e32 v131, v131                               // 000000014D64: 7F061183
	v_cvt_i32_f32_e32 v132, v132                               // 000000014D68: 7F081184
	v_cvt_i32_f32_e32 v133, v133                               // 000000014D6C: 7F0A1185
	v_cvt_i32_f32_e32 v134, v134                               // 000000014D70: 7F0C1186
	v_cvt_i32_f32_e32 v135, v135                               // 000000014D74: 7F0E1187
	v_cvt_i32_f32_e32 v136, v136                               // 000000014D78: 7F101188
	v_cvt_i32_f32_e32 v137, v137                               // 000000014D7C: 7F121189
	v_cvt_i32_f32_e32 v138, v138                               // 000000014D80: 7F14118A
	v_cvt_i32_f32_e32 v139, v139                               // 000000014D84: 7F16118B
	v_cvt_i32_f32_e32 v140, v140                               // 000000014D88: 7F18118C
	v_cvt_i32_f32_e32 v141, v141                               // 000000014D8C: 7F1A118D
	v_cvt_i32_f32_e32 v142, v142                               // 000000014D90: 7F1C118E
	v_cvt_i32_f32_e32 v143, v143                               // 000000014D94: 7F1E118F
	v_perm_b32 v128, v129, v128, s53                           // 000000014D98: D1ED0080 00D70181
	v_perm_b32 v128, v130, v128, s54                           // 000000014DA0: D1ED0080 00DB0182
	v_perm_b32 v128, v131, v128, s55                           // 000000014DA8: D1ED0080 00DF0183
	v_perm_b32 v129, v133, v132, s53                           // 000000014DB0: D1ED0081 00D70985
	v_perm_b32 v129, v134, v129, s54                           // 000000014DB8: D1ED0081 00DB0386
	v_perm_b32 v129, v135, v129, s55                           // 000000014DC0: D1ED0081 00DF0387
	v_perm_b32 v130, v137, v136, s53                           // 000000014DC8: D1ED0082 00D71189
	v_perm_b32 v130, v138, v130, s54                           // 000000014DD0: D1ED0082 00DB058A
	v_perm_b32 v130, v139, v130, s55                           // 000000014DD8: D1ED0082 00DF058B
	v_perm_b32 v131, v141, v140, s53                           // 000000014DE0: D1ED0083 00D7198D
	v_perm_b32 v131, v142, v131, s54                           // 000000014DE8: D1ED0083 00DB078E
	v_perm_b32 v131, v143, v131, s55                           // 000000014DF0: D1ED0083 00DF078F
	ds_write_b32 v10, v128 offset:29184                        // 000000014DF8: D81A7200 0000800A
	ds_write_b32 v10, v129 offset:30208                        // 000000014E00: D81A7600 0000810A
	ds_write_b32 v10, v130 offset:31232                        // 000000014E08: D81A7A00 0000820A
	ds_write_b32 v10, v131 offset:32256                        // 000000014E10: D81A7E00 0000830A
	v_add_f32_e32 v216, v216, v184                             // 000000014E18: 03B171D8
	v_add_f32_e32 v217, v217, v185                             // 000000014E1C: 03B373D9
	v_add_f32_e32 v218, v218, v186                             // 000000014E20: 03B575DA
	v_add_f32_e32 v219, v219, v187                             // 000000014E24: 03B777DB
	v_add_f32_e32 v220, v220, v188                             // 000000014E28: 03B979DC
	v_add_f32_e32 v221, v221, v189                             // 000000014E2C: 03BB7BDD
	v_add_f32_e32 v222, v222, v190                             // 000000014E30: 03BD7DDE
	v_add_f32_e32 v223, v223, v191                             // 000000014E34: 03BF7FDF
	v_rcp_f32_e32 v45, v48                                     // 000000014E38: 7E5A4530
	s_waitcnt lgkmcnt(0)                                       // 000000014E3C: BF8CC07F
	s_barrier                                                  // 000000014E40: BF8A0000
	ds_read_b64 v[128:129], v9 offset:29184                    // 000000014E44: D8EC7200 80000009
	ds_read_b64 v[130:131], v9 offset:29312                    // 000000014E4C: D8EC7280 82000009
	ds_read_b64 v[132:133], v9 offset:30208                    // 000000014E54: D8EC7600 84000009
	ds_read_b64 v[134:135], v9 offset:30336                    // 000000014E5C: D8EC7680 86000009
	ds_read_b64 v[136:137], v9 offset:31232                    // 000000014E64: D8EC7A00 88000009
	ds_read_b64 v[138:139], v9 offset:31360                    // 000000014E6C: D8EC7A80 8A000009
	ds_read_b64 v[140:141], v9 offset:32256                    // 000000014E74: D8EC7E00 8C000009
	ds_read_b64 v[142:143], v9 offset:32384                    // 000000014E7C: D8EC7E80 8E000009
	v_mov_b32_dpp v64, v43 row_shr:4 row_mask:0xf bank_mask:0xf// 000000014E84: 7E8002FA FF01142B
	v_mov_b32_dpp v65, v43 row_shl:4 row_mask:0xf bank_mask:0xf// 000000014E8C: 7E8202FA FF01042B
	v_cndmask_b32_e64 v248, v43, v64, s[44:45]                 // 000000014E94: D10000F8 00B2812B
	v_cndmask_b32_e64 v249, v65, v43, s[44:45]                 // 000000014E9C: D10000F9 00B25741
	v_mov_b32_dpp v64, v248 row_shr:8 row_mask:0xf bank_mask:0xf// 000000014EA4: 7E8002FA FF0118F8
	v_mov_b32_dpp v65, v248 row_shl:8 row_mask:0xf bank_mask:0xf// 000000014EAC: 7E8202FA FF0108F8
	v_mov_b32_dpp v66, v249 row_shr:8 row_mask:0xf bank_mask:0xf// 000000014EB4: 7E8402FA FF0118F9
	v_mov_b32_dpp v67, v249 row_shl:8 row_mask:0xf bank_mask:0xf// 000000014EBC: 7E8602FA FF0108F9
	v_mov_b32_e32 v68, v248                                    // 000000014EC4: 7E8803F8
	v_mov_b32_e32 v69, v249                                    // 000000014EC8: 7E8A03F9
	v_cndmask_b32_e64 v248, v68, v64, s[42:43]                 // 000000014ECC: D10000F8 00AA8144
	v_cndmask_b32_e64 v250, v68, v65, s[78:79]                 // 000000014ED4: D10000FA 013A8344
	v_cndmask_b32_e64 v249, v69, v66, s[42:43]                 // 000000014EDC: D10000F9 00AA8545
	v_cndmask_b32_e64 v251, v69, v67, s[78:79]                 // 000000014EE4: D10000FB 013A8745
	v_mov_b32_dpp v64, v58 row_shr:4 row_mask:0xf bank_mask:0xf// 000000014EEC: 7E8002FA FF01143A
	v_mov_b32_dpp v65, v58 row_shl:4 row_mask:0xf bank_mask:0xf// 000000014EF4: 7E8202FA FF01043A
	v_cndmask_b32_e64 v252, v58, v64, s[44:45]                 // 000000014EFC: D10000FC 00B2813A
	v_cndmask_b32_e64 v253, v65, v58, s[44:45]                 // 000000014F04: D10000FD 00B27541
	v_mov_b32_dpp v64, v252 row_shr:8 row_mask:0xf bank_mask:0xf// 000000014F0C: 7E8002FA FF0118FC
	v_mov_b32_dpp v65, v252 row_shl:8 row_mask:0xf bank_mask:0xf// 000000014F14: 7E8202FA FF0108FC
	v_mov_b32_dpp v66, v253 row_shr:8 row_mask:0xf bank_mask:0xf// 000000014F1C: 7E8402FA FF0118FD
	v_mov_b32_dpp v67, v253 row_shl:8 row_mask:0xf bank_mask:0xf// 000000014F24: 7E8602FA FF0108FD
	v_mov_b32_e32 v68, v252                                    // 000000014F2C: 7E8803FC
	v_mov_b32_e32 v69, v253                                    // 000000014F30: 7E8A03FD
	v_cndmask_b32_e64 v252, v68, v64, s[42:43]                 // 000000014F34: D10000FC 00AA8144
	v_cndmask_b32_e64 v254, v68, v65, s[78:79]                 // 000000014F3C: D10000FE 013A8344
	v_cndmask_b32_e64 v253, v69, v66, s[42:43]                 // 000000014F44: D10000FD 00AA8545
	v_cndmask_b32_e64 v255, v69, v67, s[78:79]                 // 000000014F4C: D10000FF 013A8745
	v_cvt_f32_i32_e32 v144, v144                               // 000000014F54: 7F200B90
	v_cvt_f32_i32_e32 v145, v145                               // 000000014F58: 7F220B91
	v_cvt_f32_i32_e32 v146, v146                               // 000000014F5C: 7F240B92
	v_cvt_f32_i32_e32 v147, v147                               // 000000014F60: 7F260B93
	v_cvt_f32_i32_e32 v148, v148                               // 000000014F64: 7F280B94
	v_cvt_f32_i32_e32 v149, v149                               // 000000014F68: 7F2A0B95
	v_cvt_f32_i32_e32 v150, v150                               // 000000014F6C: 7F2C0B96
	v_cvt_f32_i32_e32 v151, v151                               // 000000014F70: 7F2E0B97
	v_cvt_f32_i32_e32 v152, v152                               // 000000014F74: 7F300B98
	v_cvt_f32_i32_e32 v153, v153                               // 000000014F78: 7F320B99
	v_cvt_f32_i32_e32 v154, v154                               // 000000014F7C: 7F340B9A
	v_cvt_f32_i32_e32 v155, v155                               // 000000014F80: 7F360B9B
	v_cvt_f32_i32_e32 v156, v156                               // 000000014F84: 7F380B9C
	v_cvt_f32_i32_e32 v157, v157                               // 000000014F88: 7F3A0B9D
	v_cvt_f32_i32_e32 v158, v158                               // 000000014F8C: 7F3C0B9E
	v_cvt_f32_i32_e32 v159, v159                               // 000000014F90: 7F3E0B9F
	v_mul_f32_e32 v144, v20, v144                              // 000000014F94: 0B212114
	v_mul_f32_e32 v145, v20, v145                              // 000000014F98: 0B232314
	v_mul_f32_e32 v146, v20, v146                              // 000000014F9C: 0B252514
	v_mul_f32_e32 v147, v20, v147                              // 000000014FA0: 0B272714
	v_mul_f32_e32 v148, v20, v148                              // 000000014FA4: 0B292914
	v_mul_f32_e32 v149, v20, v149                              // 000000014FA8: 0B2B2B14
	v_mul_f32_e32 v150, v20, v150                              // 000000014FAC: 0B2D2D14
	v_mul_f32_e32 v151, v20, v151                              // 000000014FB0: 0B2F2F14
	v_mul_f32_e32 v152, v20, v152                              // 000000014FB4: 0B313114
	v_mul_f32_e32 v153, v20, v153                              // 000000014FB8: 0B333314
	v_mul_f32_e32 v154, v20, v154                              // 000000014FBC: 0B353514
	v_mul_f32_e32 v155, v20, v155                              // 000000014FC0: 0B373714
	v_mul_f32_e32 v156, v20, v156                              // 000000014FC4: 0B393914
	v_mul_f32_e32 v157, v20, v157                              // 000000014FC8: 0B3B3B14
	v_mul_f32_e32 v158, v20, v158                              // 000000014FCC: 0B3D3D14
	v_mul_f32_e32 v159, v20, v159                              // 000000014FD0: 0B3F3F14
	v_mul_f32_dpp v144, v248, v144 quad_perm:[0,0,0,0] row_mask:0xf bank_mask:0xf// 000000014FD4: 0B2120FA FF0000F8
	v_mul_f32_dpp v145, v248, v145 quad_perm:[1,1,1,1] row_mask:0xf bank_mask:0xf// 000000014FDC: 0B2322FA FF0055F8
	v_mul_f32_dpp v146, v248, v146 quad_perm:[2,2,2,2] row_mask:0xf bank_mask:0xf// 000000014FE4: 0B2524FA FF00AAF8
	v_mul_f32_dpp v147, v248, v147 quad_perm:[3,3,3,3] row_mask:0xf bank_mask:0xf// 000000014FEC: 0B2726FA FF00FFF8
	v_mul_f32_dpp v148, v249, v148 quad_perm:[0,0,0,0] row_mask:0xf bank_mask:0xf// 000000014FF4: 0B2928FA FF0000F9
	v_mul_f32_dpp v149, v249, v149 quad_perm:[1,1,1,1] row_mask:0xf bank_mask:0xf// 000000014FFC: 0B2B2AFA FF0055F9
	v_mul_f32_dpp v150, v249, v150 quad_perm:[2,2,2,2] row_mask:0xf bank_mask:0xf// 000000015004: 0B2D2CFA FF00AAF9
	v_mul_f32_dpp v151, v249, v151 quad_perm:[3,3,3,3] row_mask:0xf bank_mask:0xf// 00000001500C: 0B2F2EFA FF00FFF9
	v_mul_f32_dpp v152, v250, v152 quad_perm:[0,0,0,0] row_mask:0xf bank_mask:0xf// 000000015014: 0B3130FA FF0000FA
	v_mul_f32_dpp v153, v250, v153 quad_perm:[1,1,1,1] row_mask:0xf bank_mask:0xf// 00000001501C: 0B3332FA FF0055FA
	v_mul_f32_dpp v154, v250, v154 quad_perm:[2,2,2,2] row_mask:0xf bank_mask:0xf// 000000015024: 0B3534FA FF00AAFA
	v_mul_f32_dpp v155, v250, v155 quad_perm:[3,3,3,3] row_mask:0xf bank_mask:0xf// 00000001502C: 0B3736FA FF00FFFA
	v_mul_f32_dpp v156, v251, v156 quad_perm:[0,0,0,0] row_mask:0xf bank_mask:0xf// 000000015034: 0B3938FA FF0000FB
	v_mul_f32_dpp v157, v251, v157 quad_perm:[1,1,1,1] row_mask:0xf bank_mask:0xf// 00000001503C: 0B3B3AFA FF0055FB
	v_mul_f32_dpp v158, v251, v158 quad_perm:[2,2,2,2] row_mask:0xf bank_mask:0xf// 000000015044: 0B3D3CFA FF00AAFB
	v_mul_f32_dpp v159, v251, v159 quad_perm:[3,3,3,3] row_mask:0xf bank_mask:0xf// 00000001504C: 0B3F3EFA FF00FFFB
	s_cmp_le_i32 s90, s89                                      // 000000015054: BF05595A
	s_cbranch_scc1 label_4C08                                  // 000000015058: BF850071
	v_mov_b32_e32 v66, 0xff800000                              // 00000001505C: 7E8402FF FF800000
	s_mov_b32 s60, s90                                         // 000000015064: BEBC005A
	s_add_u32 s61, s89, 0xff                                   // 000000015068: 803DFF59 000000FF
	v_mov_b32_e32 v64, s61                                     // 000000015070: 7E80023D
	v_lshrrev_b32_e32 v240, 4, v0                              // 000000015074: 21E00084
	v_mul_i32_i24_e32 v240, 4, v240                            // 000000015078: 0DE1E084
	v_add_u32_e32 v240, s60, v240                              // 00000001507C: 69E1E03C
	s_mov_b32 s61, 2                                           // 000000015080: BEBD0082
	s_mul_i32 s60, 16, s7                                      // 000000015084: 923C0790
	v_sub_u32_e64 v240, v240, s61                              // 000000015088: D13500F0 00007BF0
	v_add_u32_e32 v240, s60, v240                              // 000000015090: 69E1E03C
	v_add_u32_e32 v241, 1, v240                                // 000000015094: 69E3E081
	v_add_u32_e32 v242, 2, v240                                // 000000015098: 69E5E082
	v_add_u32_e32 v243, 3, v240                                // 00000001509C: 69E7E083
	v_cmp_le_u32_e64 s[40:41], v240, v64                       // 0000000150A0: D0CB0028 000281F0
	v_add_u32_e32 v240, 64, v240                               // 0000000150A8: 69E1E0C0
	s_nop 0                                                    // 0000000150AC: BF800000
	v_cndmask_b32_e64 v144, v66, v144, s[40:41]                // 0000000150B0: D1000090 00A32142
	v_cmp_le_u32_e64 s[40:41], v241, v64                       // 0000000150B8: D0CB0028 000281F1
	v_add_u32_e32 v241, 64, v241                               // 0000000150C0: 69E3E2C0
	s_nop 0                                                    // 0000000150C4: BF800000
	v_cndmask_b32_e64 v145, v66, v145, s[40:41]                // 0000000150C8: D1000091 00A32342
	v_cmp_le_u32_e64 s[40:41], v242, v64                       // 0000000150D0: D0CB0028 000281F2
	v_add_u32_e32 v242, 64, v242                               // 0000000150D8: 69E5E4C0
	s_nop 0                                                    // 0000000150DC: BF800000
	v_cndmask_b32_e64 v146, v66, v146, s[40:41]                // 0000000150E0: D1000092 00A32542
	v_cmp_le_u32_e64 s[40:41], v243, v64                       // 0000000150E8: D0CB0028 000281F3
	v_add_u32_e32 v243, 64, v243                               // 0000000150F0: 69E7E6C0
	s_nop 0                                                    // 0000000150F4: BF800000
	v_cndmask_b32_e64 v147, v66, v147, s[40:41]                // 0000000150F8: D1000093 00A32742
	v_cmp_le_u32_e64 s[40:41], v240, v64                       // 000000015100: D0CB0028 000281F0
	v_add_u32_e32 v240, 64, v240                               // 000000015108: 69E1E0C0
	s_nop 0                                                    // 00000001510C: BF800000
	v_cndmask_b32_e64 v148, v66, v148, s[40:41]                // 000000015110: D1000094 00A32942
	v_cmp_le_u32_e64 s[40:41], v241, v64                       // 000000015118: D0CB0028 000281F1
	v_add_u32_e32 v241, 64, v241                               // 000000015120: 69E3E2C0
	s_nop 0                                                    // 000000015124: BF800000
	v_cndmask_b32_e64 v149, v66, v149, s[40:41]                // 000000015128: D1000095 00A32B42
	v_cmp_le_u32_e64 s[40:41], v242, v64                       // 000000015130: D0CB0028 000281F2
	v_add_u32_e32 v242, 64, v242                               // 000000015138: 69E5E4C0
	s_nop 0                                                    // 00000001513C: BF800000
	v_cndmask_b32_e64 v150, v66, v150, s[40:41]                // 000000015140: D1000096 00A32D42
	v_cmp_le_u32_e64 s[40:41], v243, v64                       // 000000015148: D0CB0028 000281F3
	v_add_u32_e32 v243, 64, v243                               // 000000015150: 69E7E6C0
	s_nop 0                                                    // 000000015154: BF800000
	v_cndmask_b32_e64 v151, v66, v151, s[40:41]                // 000000015158: D1000097 00A32F42
	v_cmp_le_u32_e64 s[40:41], v240, v64                       // 000000015160: D0CB0028 000281F0
	v_add_u32_e32 v240, 64, v240                               // 000000015168: 69E1E0C0
	s_nop 0                                                    // 00000001516C: BF800000
	v_cndmask_b32_e64 v152, v66, v152, s[40:41]                // 000000015170: D1000098 00A33142
	v_cmp_le_u32_e64 s[40:41], v241, v64                       // 000000015178: D0CB0028 000281F1
	v_add_u32_e32 v241, 64, v241                               // 000000015180: 69E3E2C0
	s_nop 0                                                    // 000000015184: BF800000
	v_cndmask_b32_e64 v153, v66, v153, s[40:41]                // 000000015188: D1000099 00A33342
	v_cmp_le_u32_e64 s[40:41], v242, v64                       // 000000015190: D0CB0028 000281F2
	v_add_u32_e32 v242, 64, v242                               // 000000015198: 69E5E4C0
	s_nop 0                                                    // 00000001519C: BF800000
	v_cndmask_b32_e64 v154, v66, v154, s[40:41]                // 0000000151A0: D100009A 00A33542
	v_cmp_le_u32_e64 s[40:41], v243, v64                       // 0000000151A8: D0CB0028 000281F3
	v_add_u32_e32 v243, 64, v243                               // 0000000151B0: 69E7E6C0
	s_nop 0                                                    // 0000000151B4: BF800000
	v_cndmask_b32_e64 v155, v66, v155, s[40:41]                // 0000000151B8: D100009B 00A33742
	v_cmp_le_u32_e64 s[40:41], v240, v64                       // 0000000151C0: D0CB0028 000281F0
	v_add_u32_e32 v240, 64, v240                               // 0000000151C8: 69E1E0C0
	s_nop 0                                                    // 0000000151CC: BF800000
	v_cndmask_b32_e64 v156, v66, v156, s[40:41]                // 0000000151D0: D100009C 00A33942
	v_cmp_le_u32_e64 s[40:41], v241, v64                       // 0000000151D8: D0CB0028 000281F1
	v_add_u32_e32 v241, 64, v241                               // 0000000151E0: 69E3E2C0
	s_nop 0                                                    // 0000000151E4: BF800000
	v_cndmask_b32_e64 v157, v66, v157, s[40:41]                // 0000000151E8: D100009D 00A33B42
	v_cmp_le_u32_e64 s[40:41], v242, v64                       // 0000000151F0: D0CB0028 000281F2
	v_add_u32_e32 v242, 64, v242                               // 0000000151F8: 69E5E4C0
	s_nop 0                                                    // 0000000151FC: BF800000
	v_cndmask_b32_e64 v158, v66, v158, s[40:41]                // 000000015200: D100009E 00A33D42
	v_cmp_le_u32_e64 s[40:41], v243, v64                       // 000000015208: D0CB0028 000281F3
	v_add_u32_e32 v243, 64, v243                               // 000000015210: 69E7E6C0
	s_nop 0                                                    // 000000015214: BF800000
	v_cndmask_b32_e64 v159, v66, v159, s[40:41]                // 000000015218: D100009F 00A33F42

0000000000015220 <label_4C08>:
	s_add_u32 s90, s91, s90                                    // 000000015220: 805A5A5B
	v_mov_b32_e32 v48, v144                                    // 000000015224: 7E600390
	v_max3_f32 v48, v144, v145, v48                            // 000000015228: D1D30030 04C32390
	v_max3_f32 v48, v146, v147, v48                            // 000000015230: D1D30030 04C32792
	v_max3_f32 v48, v148, v149, v48                            // 000000015238: D1D30030 04C32B94
	v_max3_f32 v48, v150, v151, v48                            // 000000015240: D1D30030 04C32F96
	v_max3_f32 v48, v152, v153, v48                            // 000000015248: D1D30030 04C33398
	v_max3_f32 v48, v154, v155, v48                            // 000000015250: D1D30030 04C3379A
	v_max3_f32 v48, v156, v157, v48                            // 000000015258: D1D30030 04C33B9C
	v_max3_f32 v48, v158, v159, v48                            // 000000015260: D1D30030 04C33F9E
	ds_write_b32 v8, v48 offset:16896                          // 000000015268: D81A4200 00003008
	v_mul_f32_e32 v224, v51, v224                              // 000000015270: 0BC1C133
	v_mul_f32_e32 v225, v51, v225                              // 000000015274: 0BC3C333
	v_mul_f32_e32 v226, v51, v226                              // 000000015278: 0BC5C533
	v_mul_f32_e32 v227, v51, v227                              // 00000001527C: 0BC7C733
	v_mul_f32_e32 v228, v51, v228                              // 000000015280: 0BC9C933
	v_mul_f32_e32 v229, v51, v229                              // 000000015284: 0BCBCB33
	v_mul_f32_e32 v230, v51, v230                              // 000000015288: 0BCDCD33
	v_mul_f32_e32 v231, v51, v231                              // 00000001528C: 0BCFCF33
	s_waitcnt lgkmcnt(0)                                       // 000000015290: BF8CC07F
	s_barrier                                                  // 000000015294: BF8A0000
	ds_read_b32 v64, v7 offset:16896                           // 000000015298: D86C4200 40000007
	ds_read_b32 v65, v7 offset:16960                           // 0000000152A0: D86C4240 41000007
	ds_read_b32 v66, v7 offset:17024                           // 0000000152A8: D86C4280 42000007
	ds_read_b32 v67, v7 offset:17088                           // 0000000152B0: D86C42C0 43000007
	ds_read_b32 v68, v7 offset:17152                           // 0000000152B8: D86C4300 44000007
	ds_read_b32 v69, v7 offset:17216                           // 0000000152C0: D86C4340 45000007
	ds_read_b32 v70, v7 offset:17280                           // 0000000152C8: D86C4380 46000007
	ds_read_b32 v71, v7 offset:17344                           // 0000000152D0: D86C43C0 47000007
	ds_read_b32 v72, v7 offset:17408                           // 0000000152D8: D86C4400 48000007
	ds_read_b32 v73, v7 offset:17472                           // 0000000152E0: D86C4440 49000007
	ds_read_b32 v74, v7 offset:17536                           // 0000000152E8: D86C4480 4A000007
	ds_read_b32 v75, v7 offset:17600                           // 0000000152F0: D86C44C0 4B000007
	ds_read_b32 v76, v7 offset:17664                           // 0000000152F8: D86C4500 4C000007
	ds_read_b32 v77, v7 offset:17728                           // 000000015300: D86C4540 4D000007
	ds_read_b32 v78, v7 offset:17792                           // 000000015308: D86C4580 4E000007
	ds_read_b32 v79, v7 offset:17856                           // 000000015310: D86C45C0 4F000007
	v_cvt_f32_i32_e32 v192, v192                               // 000000015318: 7F800BC0
	v_cvt_f32_i32_e32 v193, v193                               // 00000001531C: 7F820BC1
	v_cvt_f32_i32_e32 v194, v194                               // 000000015320: 7F840BC2
	v_cvt_f32_i32_e32 v195, v195                               // 000000015324: 7F860BC3
	v_cvt_f32_i32_e32 v196, v196                               // 000000015328: 7F880BC4
	v_cvt_f32_i32_e32 v197, v197                               // 00000001532C: 7F8A0BC5
	v_cvt_f32_i32_e32 v198, v198                               // 000000015330: 7F8C0BC6
	v_cvt_f32_i32_e32 v199, v199                               // 000000015334: 7F8E0BC7
	v_mul_f32_e32 v192, v46, v192                              // 000000015338: 0B81812E
	v_mul_f32_e32 v193, v46, v193                              // 00000001533C: 0B83832E
	v_mul_f32_e32 v194, v46, v194                              // 000000015340: 0B85852E
	v_mul_f32_e32 v195, v46, v195                              // 000000015344: 0B87872E
	v_mul_f32_e32 v196, v46, v196                              // 000000015348: 0B89892E
	v_mul_f32_e32 v197, v46, v197                              // 00000001534C: 0B8B8B2E
	v_mul_f32_e32 v198, v46, v198                              // 000000015350: 0B8D8D2E
	v_mul_f32_e32 v199, v46, v199                              // 000000015354: 0B8F8F2E
	s_waitcnt lgkmcnt(0)                                       // 000000015358: BF8CC07F
	v_max3_f32 v48, v64, v65, v48                              // 00000001535C: D1D30030 04C28340
	v_max3_f32 v48, v66, v67, v48                              // 000000015364: D1D30030 04C28742
	v_max3_f32 v48, v68, v69, v48                              // 00000001536C: D1D30030 04C28B44
	v_max3_f32 v48, v70, v71, v48                              // 000000015374: D1D30030 04C28F46
	v_max3_f32 v48, v72, v73, v48                              // 00000001537C: D1D30030 04C29348
	v_max3_f32 v48, v74, v75, v48                              // 000000015384: D1D30030 04C2974A
	v_max3_f32 v48, v76, v77, v48                              // 00000001538C: D1D30030 04C29B4C
	v_max3_f32 v48, v78, v79, v48                              // 000000015394: D1D30030 04C29F4E
	v_mov_b32_e32 v64, 0xff800000                              // 00000001539C: 7E8002FF FF800000
	v_cmp_eq_u32_e64 s[40:41], v64, v13                        // 0000000153A4: D0CA0028 00021B40
	s_nop 1                                                    // 0000000153AC: BF800001
	v_max_f32_e32 v15, v48, v13                                // 0000000153B0: 161E1B30
	v_mul_f32_e32 v53, s64, v15                                // 0000000153B4: 0A6A1E40
	v_fma_f32 v144, v144, s64, -v53                            // 0000000153B8: D1CB0090 84D48190
	v_fma_f32 v145, v145, s64, -v53                            // 0000000153C0: D1CB0091 84D48191
	v_fma_f32 v146, v146, s64, -v53                            // 0000000153C8: D1CB0092 84D48192
	v_fma_f32 v147, v147, s64, -v53                            // 0000000153D0: D1CB0093 84D48193
	v_fma_f32 v148, v148, s64, -v53                            // 0000000153D8: D1CB0094 84D48194
	v_fma_f32 v149, v149, s64, -v53                            // 0000000153E0: D1CB0095 84D48195
	v_fma_f32 v150, v150, s64, -v53                            // 0000000153E8: D1CB0096 84D48196
	v_fma_f32 v151, v151, s64, -v53                            // 0000000153F0: D1CB0097 84D48197
	v_fma_f32 v152, v152, s64, -v53                            // 0000000153F8: D1CB0098 84D48198
	v_fma_f32 v153, v153, s64, -v53                            // 000000015400: D1CB0099 84D48199
	v_fma_f32 v154, v154, s64, -v53                            // 000000015408: D1CB009A 84D4819A
	v_fma_f32 v155, v155, s64, -v53                            // 000000015410: D1CB009B 84D4819B
	v_fma_f32 v156, v156, s64, -v53                            // 000000015418: D1CB009C 84D4819C
	v_fma_f32 v157, v157, s64, -v53                            // 000000015420: D1CB009D 84D4819D
	v_fma_f32 v158, v158, s64, -v53                            // 000000015428: D1CB009E 84D4819E
	v_fma_f32 v159, v159, s64, -v53                            // 000000015430: D1CB009F 84D4819F
	v_exp_f32_e32 v144, v144                                   // 000000015438: 7F204190
	v_exp_f32_e32 v145, v145                                   // 00000001543C: 7F224191
	v_exp_f32_e32 v146, v146                                   // 000000015440: 7F244192
	v_exp_f32_e32 v147, v147                                   // 000000015444: 7F264193
	v_exp_f32_e32 v148, v148                                   // 000000015448: 7F284194
	v_exp_f32_e32 v149, v149                                   // 00000001544C: 7F2A4195
	v_exp_f32_e32 v150, v150                                   // 000000015450: 7F2C4196
	v_exp_f32_e32 v151, v151                                   // 000000015454: 7F2E4197
	v_exp_f32_e32 v152, v152                                   // 000000015458: 7F304198
	v_exp_f32_e32 v153, v153                                   // 00000001545C: 7F324199
	v_exp_f32_e32 v154, v154                                   // 000000015460: 7F34419A
	v_exp_f32_e32 v155, v155                                   // 000000015464: 7F36419B
	v_exp_f32_e32 v156, v156                                   // 000000015468: 7F38419C
	v_exp_f32_e32 v157, v157                                   // 00000001546C: 7F3A419D
	v_exp_f32_e32 v158, v158                                   // 000000015470: 7F3C419E
	v_exp_f32_e32 v159, v159                                   // 000000015474: 7F3E419F
	v_mul_f32_dpp v240, v252, v144 quad_perm:[0,0,0,0] row_mask:0xf bank_mask:0xf// 000000015478: 0BE120FA FF0000FC
	v_mul_f32_dpp v241, v252, v145 quad_perm:[1,1,1,1] row_mask:0xf bank_mask:0xf// 000000015480: 0BE322FA FF0055FC
	v_mul_f32_dpp v242, v252, v146 quad_perm:[2,2,2,2] row_mask:0xf bank_mask:0xf// 000000015488: 0BE524FA FF00AAFC
	v_mul_f32_dpp v243, v252, v147 quad_perm:[3,3,3,3] row_mask:0xf bank_mask:0xf// 000000015490: 0BE726FA FF00FFFC
	v_mul_f32_dpp v244, v253, v148 quad_perm:[0,0,0,0] row_mask:0xf bank_mask:0xf// 000000015498: 0BE928FA FF0000FD
	v_mul_f32_dpp v245, v253, v149 quad_perm:[1,1,1,1] row_mask:0xf bank_mask:0xf// 0000000154A0: 0BEB2AFA FF0055FD
	v_mul_f32_dpp v246, v253, v150 quad_perm:[2,2,2,2] row_mask:0xf bank_mask:0xf// 0000000154A8: 0BED2CFA FF00AAFD
	v_mul_f32_dpp v247, v253, v151 quad_perm:[3,3,3,3] row_mask:0xf bank_mask:0xf// 0000000154B0: 0BEF2EFA FF00FFFD
	v_mul_f32_dpp v248, v254, v152 quad_perm:[0,0,0,0] row_mask:0xf bank_mask:0xf// 0000000154B8: 0BF130FA FF0000FE
	v_mul_f32_dpp v249, v254, v153 quad_perm:[1,1,1,1] row_mask:0xf bank_mask:0xf// 0000000154C0: 0BF332FA FF0055FE
	v_mul_f32_dpp v250, v254, v154 quad_perm:[2,2,2,2] row_mask:0xf bank_mask:0xf// 0000000154C8: 0BF534FA FF00AAFE
	v_mul_f32_dpp v251, v254, v155 quad_perm:[3,3,3,3] row_mask:0xf bank_mask:0xf// 0000000154D0: 0BF736FA FF00FFFE
	v_mul_f32_dpp v252, v255, v156 quad_perm:[0,0,0,0] row_mask:0xf bank_mask:0xf// 0000000154D8: 0BF938FA FF0000FF
	v_mul_f32_dpp v253, v255, v157 quad_perm:[1,1,1,1] row_mask:0xf bank_mask:0xf// 0000000154E0: 0BFB3AFA FF0055FF
	v_mul_f32_dpp v254, v255, v158 quad_perm:[2,2,2,2] row_mask:0xf bank_mask:0xf// 0000000154E8: 0BFD3CFA FF00AAFF
	v_mul_f32_dpp v255, v255, v159 quad_perm:[3,3,3,3] row_mask:0xf bank_mask:0xf// 0000000154F0: 0BFF3EFA FF00FFFF
	v_mov_b32_e32 v48, 0x358637bd                              // 0000000154F8: 7E6002FF 358637BD
	v_max3_f32 v48, |v240|, |v241|, v48                        // 000000015500: D1D30330 04C3E3F0
	v_max3_f32 v48, |v242|, |v243|, v48                        // 000000015508: D1D30330 04C3E7F2
	v_max3_f32 v48, |v244|, |v245|, v48                        // 000000015510: D1D30330 04C3EBF4
	v_max3_f32 v48, |v246|, |v247|, v48                        // 000000015518: D1D30330 04C3EFF6
	v_max3_f32 v48, |v248|, |v249|, v48                        // 000000015520: D1D30330 04C3F3F8
	v_max3_f32 v48, |v250|, |v251|, v48                        // 000000015528: D1D30330 04C3F7FA
	v_max3_f32 v48, |v252|, |v253|, v48                        // 000000015530: D1D30330 04C3FBFC
	v_max3_f32 v48, |v254|, |v255|, v48                        // 000000015538: D1D30330 04C3FFFE
	ds_write_b32 v8, v48 offset:20992                          // 000000015540: D81A5200 00003008
	v_sub_f32_e32 v51, v13, v15                                // 000000015548: 04661F0D
	v_cndmask_b32_e64 v51, v51, 0, s[40:41]                    // 00000001554C: D1000033 00A10133
	v_mov_b32_e32 v13, v15                                     // 000000015554: 7E1A030F
	v_mul_f32_e32 v51, s64, v51                                // 000000015558: 0A666640
	v_exp_f32_e32 v51, v51                                     // 00000001555C: 7E664133
	s_waitcnt lgkmcnt(0)                                       // 000000015560: BF8CC07F
	s_barrier                                                  // 000000015564: BF8A0000
	ds_read_b32 v64, v7 offset:20992                           // 000000015568: D86C5200 40000007
	ds_read_b32 v65, v7 offset:21056                           // 000000015570: D86C5240 41000007
	ds_read_b32 v66, v7 offset:21120                           // 000000015578: D86C5280 42000007
	ds_read_b32 v67, v7 offset:21184                           // 000000015580: D86C52C0 43000007
	ds_read_b32 v68, v7 offset:21248                           // 000000015588: D86C5300 44000007
	ds_read_b32 v69, v7 offset:21312                           // 000000015590: D86C5340 45000007
	ds_read_b32 v70, v7 offset:21376                           // 000000015598: D86C5380 46000007
	ds_read_b32 v71, v7 offset:21440                           // 0000000155A0: D86C53C0 47000007
	ds_read_b32 v72, v7 offset:21504                           // 0000000155A8: D86C5400 48000007
	ds_read_b32 v73, v7 offset:21568                           // 0000000155B0: D86C5440 49000007
	ds_read_b32 v74, v7 offset:21632                           // 0000000155B8: D86C5480 4A000007
	ds_read_b32 v75, v7 offset:21696                           // 0000000155C0: D86C54C0 4B000007
	ds_read_b32 v76, v7 offset:21760                           // 0000000155C8: D86C5500 4C000007
	ds_read_b32 v77, v7 offset:21824                           // 0000000155D0: D86C5540 4D000007
	ds_read_b32 v78, v7 offset:21888                           // 0000000155D8: D86C5580 4E000007
	ds_read_b32 v79, v7 offset:21952                           // 0000000155E0: D86C55C0 4F000007
	v_mul_f32_e32 v40, v51, v40                                // 0000000155E8: 0A505133
	v_mov_b32_e32 v15, v144                                    // 0000000155EC: 7E1E0390
	v_add_f32_e32 v15, v145, v15                               // 0000000155F0: 021E1F91
	v_add_f32_e32 v15, v146, v15                               // 0000000155F4: 021E1F92
	v_add_f32_e32 v15, v147, v15                               // 0000000155F8: 021E1F93
	v_add_f32_e32 v15, v148, v15                               // 0000000155FC: 021E1F94
	v_add_f32_e32 v15, v149, v15                               // 000000015600: 021E1F95
	v_add_f32_e32 v15, v150, v15                               // 000000015604: 021E1F96
	v_add_f32_e32 v15, v151, v15                               // 000000015608: 021E1F97
	v_add_f32_e32 v15, v152, v15                               // 00000001560C: 021E1F98
	v_add_f32_e32 v15, v153, v15                               // 000000015610: 021E1F99
	v_add_f32_e32 v15, v154, v15                               // 000000015614: 021E1F9A
	v_add_f32_e32 v15, v155, v15                               // 000000015618: 021E1F9B
	v_add_f32_e32 v15, v156, v15                               // 00000001561C: 021E1F9C
	v_add_f32_e32 v15, v157, v15                               // 000000015620: 021E1F9D
	v_add_f32_e32 v15, v158, v15                               // 000000015624: 021E1F9E
	v_add_f32_e32 v15, v159, v15                               // 000000015628: 021E1F9F
	v_add_f32_e32 v40, v15, v40                                // 00000001562C: 0250510F
	s_waitcnt lgkmcnt(0)                                       // 000000015630: BF8CC07F
	v_max3_f32 v48, |v64|, |v65|, v48                          // 000000015634: D1D30330 04C28340
	v_max3_f32 v48, |v66|, |v67|, v48                          // 00000001563C: D1D30330 04C28742
	v_max3_f32 v48, |v68|, |v69|, v48                          // 000000015644: D1D30330 04C28B44
	v_max3_f32 v48, |v70|, |v71|, v48                          // 00000001564C: D1D30330 04C28F46
	v_max3_f32 v48, |v72|, |v73|, v48                          // 000000015654: D1D30330 04C29348
	v_max3_f32 v48, |v74|, |v75|, v48                          // 00000001565C: D1D30330 04C2974A
	v_max3_f32 v48, |v76|, |v77|, v48                          // 000000015664: D1D30330 04C29B4C
	v_max3_f32 v48, |v78|, |v79|, v48                          // 00000001566C: D1D30330 04C29F4E
	s_nop 2                                                    // 000000015674: BF800002
	v_rcp_f32_e32 v48, v48                                     // 000000015678: 7E604530
	s_nop 1                                                    // 00000001567C: BF800001
	v_mul_f32_e32 v48, 0x42fe0000, v48                         // 000000015680: 0A6060FF 42FE0000
	v_mul_f32_e32 v144, v48, v240                              // 000000015688: 0B21E130
	v_mul_f32_e32 v145, v48, v241                              // 00000001568C: 0B23E330
	v_mul_f32_e32 v146, v48, v242                              // 000000015690: 0B25E530
	v_mul_f32_e32 v147, v48, v243                              // 000000015694: 0B27E730
	v_mul_f32_e32 v148, v48, v244                              // 000000015698: 0B29E930
	v_mul_f32_e32 v149, v48, v245                              // 00000001569C: 0B2BEB30
	v_mul_f32_e32 v150, v48, v246                              // 0000000156A0: 0B2DED30
	v_mul_f32_e32 v151, v48, v247                              // 0000000156A4: 0B2FEF30
	v_mul_f32_e32 v152, v48, v248                              // 0000000156A8: 0B31F130
	v_mul_f32_e32 v153, v48, v249                              // 0000000156AC: 0B33F330
	v_mul_f32_e32 v154, v48, v250                              // 0000000156B0: 0B35F530
	v_mul_f32_e32 v155, v48, v251                              // 0000000156B4: 0B37F730
	v_mul_f32_e32 v156, v48, v252                              // 0000000156B8: 0B39F930
	v_mul_f32_e32 v157, v48, v253                              // 0000000156BC: 0B3BFB30
	v_mul_f32_e32 v158, v48, v254                              // 0000000156C0: 0B3DFD30
	v_mul_f32_e32 v159, v48, v255                              // 0000000156C4: 0B3FFF30
	v_cvt_i32_f32_e32 v144, v144                               // 0000000156C8: 7F201190
	v_cvt_i32_f32_e32 v145, v145                               // 0000000156CC: 7F221191
	v_cvt_i32_f32_e32 v146, v146                               // 0000000156D0: 7F241192
	v_cvt_i32_f32_e32 v147, v147                               // 0000000156D4: 7F261193
	v_cvt_i32_f32_e32 v148, v148                               // 0000000156D8: 7F281194
	v_cvt_i32_f32_e32 v149, v149                               // 0000000156DC: 7F2A1195
	v_cvt_i32_f32_e32 v150, v150                               // 0000000156E0: 7F2C1196
	v_cvt_i32_f32_e32 v151, v151                               // 0000000156E4: 7F2E1197
	v_cvt_i32_f32_e32 v152, v152                               // 0000000156E8: 7F301198
	v_cvt_i32_f32_e32 v153, v153                               // 0000000156EC: 7F321199
	v_cvt_i32_f32_e32 v154, v154                               // 0000000156F0: 7F34119A
	v_cvt_i32_f32_e32 v155, v155                               // 0000000156F4: 7F36119B
	v_cvt_i32_f32_e32 v156, v156                               // 0000000156F8: 7F38119C
	v_cvt_i32_f32_e32 v157, v157                               // 0000000156FC: 7F3A119D
	v_cvt_i32_f32_e32 v158, v158                               // 000000015700: 7F3C119E
	v_cvt_i32_f32_e32 v159, v159                               // 000000015704: 7F3E119F
	v_perm_b32 v144, v145, v144, s53                           // 000000015708: D1ED0090 00D72191
	v_perm_b32 v144, v146, v144, s54                           // 000000015710: D1ED0090 00DB2192
	v_perm_b32 v144, v147, v144, s55                           // 000000015718: D1ED0090 00DF2193
	v_perm_b32 v145, v149, v148, s53                           // 000000015720: D1ED0091 00D72995
	v_perm_b32 v145, v150, v145, s54                           // 000000015728: D1ED0091 00DB2396
	v_perm_b32 v145, v151, v145, s55                           // 000000015730: D1ED0091 00DF2397
	v_perm_b32 v146, v153, v152, s53                           // 000000015738: D1ED0092 00D73199
	v_perm_b32 v146, v154, v146, s54                           // 000000015740: D1ED0092 00DB259A
	v_perm_b32 v146, v155, v146, s55                           // 000000015748: D1ED0092 00DF259B
	v_perm_b32 v147, v157, v156, s53                           // 000000015750: D1ED0093 00D7399D
	v_perm_b32 v147, v158, v147, s54                           // 000000015758: D1ED0093 00DB279E
	v_perm_b32 v147, v159, v147, s55                           // 000000015760: D1ED0093 00DF279F
	ds_write_b32 v10, v144 offset:33280                        // 000000015768: D81A8200 0000900A
	ds_write_b32 v10, v145 offset:34304                        // 000000015770: D81A8600 0000910A
	ds_write_b32 v10, v146 offset:35328                        // 000000015778: D81A8A00 0000920A
	ds_write_b32 v10, v147 offset:36352                        // 000000015780: D81A8E00 0000930A
	v_add_f32_e32 v224, v224, v192                             // 000000015788: 03C181E0
	v_add_f32_e32 v225, v225, v193                             // 00000001578C: 03C383E1
	v_add_f32_e32 v226, v226, v194                             // 000000015790: 03C585E2
	v_add_f32_e32 v227, v227, v195                             // 000000015794: 03C787E3
	v_add_f32_e32 v228, v228, v196                             // 000000015798: 03C989E4
	v_add_f32_e32 v229, v229, v197                             // 00000001579C: 03CB8BE5
	v_add_f32_e32 v230, v230, v198                             // 0000000157A0: 03CD8DE6
	v_add_f32_e32 v231, v231, v199                             // 0000000157A4: 03CF8FE7
	v_rcp_f32_e32 v46, v48                                     // 0000000157A8: 7E5C4530
	s_waitcnt lgkmcnt(0)                                       // 0000000157AC: BF8CC07F
	s_barrier                                                  // 0000000157B0: BF8A0000
	ds_read_b64 v[144:145], v9 offset:33280                    // 0000000157B4: D8EC8200 90000009
	ds_read_b64 v[146:147], v9 offset:33408                    // 0000000157BC: D8EC8280 92000009
	ds_read_b64 v[148:149], v9 offset:34304                    // 0000000157C4: D8EC8600 94000009
	ds_read_b64 v[150:151], v9 offset:34432                    // 0000000157CC: D8EC8680 96000009
	ds_read_b64 v[152:153], v9 offset:35328                    // 0000000157D4: D8EC8A00 98000009
	ds_read_b64 v[154:155], v9 offset:35456                    // 0000000157DC: D8EC8A80 9A000009
	ds_read_b64 v[156:157], v9 offset:36352                    // 0000000157E4: D8EC8E00 9C000009
	ds_read_b64 v[158:159], v9 offset:36480                    // 0000000157EC: D8EC8E80 9E000009
	s_waitcnt vmcnt(15)                                        // 0000000157F4: BF8C0F7F
	v_mfma_i32_16x16x32_i8 v[176:179], a[96:97], v[112:113], 0 // 0000000157F8: D3D700B0 0A02E160
	v_mfma_i32_16x16x32_i8 v[176:179], a[98:99], v[114:115], v[176:179]// 000000015800: D3D700B0 0EC2E562
	buffer_load_dwordx4 a[80:83], v30, s[20:23], 0 offen offset:1024// 000000015808: E05C1400 8085501E
	v_mfma_i32_16x16x32_i8 v[176:179], a[100:101], v[116:117], v[176:179]// 000000015810: D3D700B0 0EC2E964
	v_mfma_i32_16x16x32_i8 v[176:179], a[102:103], v[118:119], v[176:179]// 000000015818: D3D700B0 0EC2ED66
	v_mfma_i32_16x16x32_i8 v[176:179], a[104:105], v[120:121], v[176:179]// 000000015820: D3D700B0 0EC2F168
	v_mfma_i32_16x16x32_i8 v[176:179], a[106:107], v[122:123], v[176:179]// 000000015828: D3D700B0 0EC2F56A
	buffer_load_dwordx4 a[84:87], v31, s[20:23], 0 offen offset:1024// 000000015830: E05C1400 8085541F
	v_mfma_i32_16x16x32_i8 v[176:179], a[108:109], v[124:125], v[176:179]// 000000015838: D3D700B0 0EC2F96C
	v_mfma_i32_16x16x32_i8 v[176:179], a[110:111], v[126:127], v[176:179]// 000000015840: D3D700B0 0EC2FD6E
	v_mfma_i32_16x16x32_i8 v[180:183], a[112:113], v[112:113], 0// 000000015848: D3D700B4 0A02E170
	v_mfma_i32_16x16x32_i8 v[180:183], a[114:115], v[114:115], v[180:183]// 000000015850: D3D700B4 0ED2E572
	buffer_load_dwordx4 a[88:91], v32, s[20:23], 0 offen offset:1024// 000000015858: E05C1400 80855820
	v_mfma_i32_16x16x32_i8 v[180:183], a[116:117], v[116:117], v[180:183]// 000000015860: D3D700B4 0ED2E974
	v_mfma_i32_16x16x32_i8 v[180:183], a[118:119], v[118:119], v[180:183]// 000000015868: D3D700B4 0ED2ED76
	v_mfma_i32_16x16x32_i8 v[180:183], a[120:121], v[120:121], v[180:183]// 000000015870: D3D700B4 0ED2F178
	v_mfma_i32_16x16x32_i8 v[180:183], a[122:123], v[122:123], v[180:183]// 000000015878: D3D700B4 0ED2F57A
	buffer_load_dwordx4 a[92:95], v33, s[20:23], 0 offen offset:1024// 000000015880: E05C1400 80855C21
	v_mfma_i32_16x16x32_i8 v[180:183], a[124:125], v[124:125], v[180:183]// 000000015888: D3D700B4 0ED2F97C
	s_lshr_b32 s57, s70, 4                                     // 000000015890: 8F398446
	s_add_u32 s57, 48, s57                                     // 000000015894: 803939B0
	v_mfma_i32_16x16x32_i8 v[180:183], a[126:127], v[126:127], v[180:183]// 000000015898: D3D700B4 0ED2FD7E
	s_cmp_ge_u32 s57, s73                                      // 0000000158A0: BF094939
	s_cselect_b32 s56, 0, s56                                  // 0000000158A4: 85383880
	v_mfma_i32_16x16x32_i8 v[184:187], a[96:97], v[128:129], 0 // 0000000158A8: D3D700B8 0A030160
	v_mfma_i32_16x16x32_i8 v[184:187], a[98:99], v[130:131], v[184:187]// 0000000158B0: D3D700B8 0EE30562
	v_mfma_i32_16x16x32_i8 v[184:187], a[100:101], v[132:133], v[184:187]// 0000000158B8: D3D700B8 0EE30964
	v_mfma_i32_16x16x32_i8 v[184:187], a[102:103], v[134:135], v[184:187]// 0000000158C0: D3D700B8 0EE30D66
	v_mfma_i32_16x16x32_i8 v[184:187], a[104:105], v[136:137], v[184:187]// 0000000158C8: D3D700B8 0EE31168
	v_mfma_i32_16x16x32_i8 v[184:187], a[106:107], v[138:139], v[184:187]// 0000000158D0: D3D700B8 0EE3156A
	v_mfma_i32_16x16x32_i8 v[184:187], a[108:109], v[140:141], v[184:187]// 0000000158D8: D3D700B8 0EE3196C
	v_mfma_i32_16x16x32_i8 v[184:187], a[110:111], v[142:143], v[184:187]// 0000000158E0: D3D700B8 0EE31D6E
	v_mfma_i32_16x16x32_i8 v[188:191], a[112:113], v[128:129], 0// 0000000158E8: D3D700BC 0A030170
	v_mfma_i32_16x16x32_i8 v[188:191], a[114:115], v[130:131], v[188:191]// 0000000158F0: D3D700BC 0EF30572
	v_mfma_i32_16x16x32_i8 v[188:191], a[116:117], v[132:133], v[188:191]// 0000000158F8: D3D700BC 0EF30974
	v_mfma_i32_16x16x32_i8 v[188:191], a[118:119], v[134:135], v[188:191]// 000000015900: D3D700BC 0EF30D76
	v_mfma_i32_16x16x32_i8 v[188:191], a[120:121], v[136:137], v[188:191]// 000000015908: D3D700BC 0EF31178
	v_mfma_i32_16x16x32_i8 v[188:191], a[122:123], v[138:139], v[188:191]// 000000015910: D3D700BC 0EF3157A
	v_mfma_i32_16x16x32_i8 v[188:191], a[124:125], v[140:141], v[188:191]// 000000015918: D3D700BC 0EF3197C
	v_mfma_i32_16x16x32_i8 v[188:191], a[126:127], v[142:143], v[188:191]// 000000015920: D3D700BC 0EF31D7E
	v_mfma_i32_16x16x32_i8 v[192:195], a[96:97], v[144:145], 0 // 000000015928: D3D700C0 0A032160
	v_mfma_i32_16x16x32_i8 v[192:195], a[98:99], v[146:147], v[192:195]// 000000015930: D3D700C0 0F032562
	v_mfma_i32_16x16x32_i8 v[192:195], a[100:101], v[148:149], v[192:195]// 000000015938: D3D700C0 0F032964
	v_mfma_i32_16x16x32_i8 v[192:195], a[102:103], v[150:151], v[192:195]// 000000015940: D3D700C0 0F032D66
	v_mfma_i32_16x16x32_i8 v[192:195], a[104:105], v[152:153], v[192:195]// 000000015948: D3D700C0 0F033168
	v_mfma_i32_16x16x32_i8 v[192:195], a[106:107], v[154:155], v[192:195]// 000000015950: D3D700C0 0F03356A
	v_mfma_i32_16x16x32_i8 v[192:195], a[108:109], v[156:157], v[192:195]// 000000015958: D3D700C0 0F03396C
	v_mfma_i32_16x16x32_i8 v[192:195], a[110:111], v[158:159], v[192:195]// 000000015960: D3D700C0 0F033D6E
	v_mfma_i32_16x16x32_i8 v[196:199], a[112:113], v[144:145], 0// 000000015968: D3D700C4 0A032170
	v_mfma_i32_16x16x32_i8 v[196:199], a[114:115], v[146:147], v[196:199]// 000000015970: D3D700C4 0F132572
	v_mfma_i32_16x16x32_i8 v[196:199], a[116:117], v[148:149], v[196:199]// 000000015978: D3D700C4 0F132974
	v_mfma_i32_16x16x32_i8 v[196:199], a[118:119], v[150:151], v[196:199]// 000000015980: D3D700C4 0F132D76
	v_mfma_i32_16x16x32_i8 v[196:199], a[120:121], v[152:153], v[196:199]// 000000015988: D3D700C4 0F133178
	v_mfma_i32_16x16x32_i8 v[196:199], a[122:123], v[154:155], v[196:199]// 000000015990: D3D700C4 0F13357A
	v_mfma_i32_16x16x32_i8 v[196:199], a[124:125], v[156:157], v[196:199]// 000000015998: D3D700C4 0F13397C
	v_mfma_i32_16x16x32_i8 v[196:199], a[126:127], v[158:159], v[196:199]// 0000000159A0: D3D700C4 0F133D7E
	v_add_u32_e32 v1, s56, v1                                  // 0000000159A8: 68020238
	s_addk_i32 s70, 0x100                                      // 0000000159AC: B7460100
	s_cmp_lt_i32 s70, s71                                      // 0000000159B0: BF044746
	s_cbranch_scc0 label_4DEF                                  // 0000000159B4: BF840001
	s_branch label_3DAE                                        // 0000000159B8: BF82EFBF

00000000000159bc <label_4DEF>:
	s_nop 0                                                    // 0000000159BC: BF800000
	s_nop 0                                                    // 0000000159C0: BF800000
	s_branch label_5E33                                        // 0000000159C4: BF821041

00000000000159c8 <label_4DF2>:
	s_waitcnt vmcnt(8) lgkmcnt(0)                              // 0000000159C8: BF8C0078
	v_mul_u32_u24_dpp v64, v17, v54 row_newbcast:0 row_mask:0xf bank_mask:0xf// 0000000159CC: 10806CFA FF015011
	v_mul_u32_u24_dpp v65, v17, v54 row_newbcast:4 row_mask:0xf bank_mask:0xf// 0000000159D4: 10826CFA FF015411
	v_mul_u32_u24_dpp v66, v17, v54 row_newbcast:8 row_mask:0xf bank_mask:0xf// 0000000159DC: 10846CFA FF015811
	v_mul_u32_u24_dpp v67, v17, v54 row_newbcast:12 row_mask:0xf bank_mask:0xf// 0000000159E4: 10866CFA FF015C11
	v_add_u32_e32 v26, v64, v5                                 // 0000000159EC: 68340B40
	v_add_u32_e32 v27, v65, v5                                 // 0000000159F0: 68360B41
	v_add_u32_e32 v28, v66, v5                                 // 0000000159F4: 68380B42
	v_add_u32_e32 v29, v67, v5                                 // 0000000159F8: 683A0B43
	v_mul_u32_u24_dpp v64, v17, v63 quad_perm:[0,0,0,0] row_mask:0xf bank_mask:0xf// 0000000159FC: 10807EFA FF000011
	v_add_u32_e32 v3, v64, v59                                 // 000000015A04: 68067740
	v_mul_u32_u24_dpp v64, v17, v63 quad_perm:[0,0,0,0] row_mask:0xf bank_mask:0xf// 000000015A08: 10807EFA FF000011
	v_add_u32_e32 v56, v64, v60                                // 000000015A10: 68707940
	v_mfma_i32_16x16x32_i8 v[112:115], a[0:1], v[80:81], 0     // 000000015A14: D3D70070 0A02A100
	buffer_load_dwordx4 a[32:35], v26, s[16:19], 0 offen       // 000000015A1C: E05C1000 8084201A
	v_mfma_i32_16x16x32_i8 v[112:115], a[2:3], v[82:83], v[112:115]// 000000015A24: D3D70070 0DC2A502
	v_mfma_i32_16x16x32_i8 v[112:115], a[4:5], v[84:85], v[112:115]// 000000015A2C: D3D70070 0DC2A904
	buffer_load_dword v16, v1, s[24:27], 0 offen               // 000000015A34: E0501000 80061001
	v_mfma_i32_16x16x32_i8 v[112:115], a[6:7], v[86:87], v[112:115]// 000000015A3C: D3D70070 0DC2AD06
	v_mfma_i32_16x16x32_i8 v[116:119], a[8:9], v[80:81], 0     // 000000015A44: D3D70074 0A02A108
	buffer_load_dwordx4 a[36:39], v26, s[16:19], 0 offen offset:1024// 000000015A4C: E05C1400 8084241A
	v_mfma_i32_16x16x32_i8 v[116:119], a[10:11], v[82:83], v[116:119]// 000000015A54: D3D70074 0DD2A50A
	v_mfma_i32_16x16x32_i8 v[116:119], a[12:13], v[84:85], v[116:119]// 000000015A5C: D3D70074 0DD2A90C
	v_mfma_i32_16x16x32_i8 v[116:119], a[14:15], v[86:87], v[116:119]// 000000015A64: D3D70074 0DD2AD0E
	v_mfma_i32_16x16x32_i8 v[120:123], a[16:17], v[80:81], 0   // 000000015A6C: D3D70078 0A02A110
	buffer_load_dwordx4 a[40:43], v27, s[16:19], 0 offen       // 000000015A74: E05C1000 8084281B
	v_mfma_i32_16x16x32_i8 v[120:123], a[18:19], v[82:83], v[120:123]// 000000015A7C: D3D70078 0DE2A512
	v_mfma_i32_16x16x32_i8 v[120:123], a[20:21], v[84:85], v[120:123]// 000000015A84: D3D70078 0DE2A914
	v_mfma_i32_16x16x32_i8 v[120:123], a[22:23], v[86:87], v[120:123]// 000000015A8C: D3D70078 0DE2AD16
	v_mfma_i32_16x16x32_i8 v[124:127], a[24:25], v[80:81], 0   // 000000015A94: D3D7007C 0A02A118
	buffer_load_dwordx4 a[44:47], v27, s[16:19], 0 offen offset:1024// 000000015A9C: E05C1400 80842C1B
	v_mfma_i32_16x16x32_i8 v[124:127], a[26:27], v[82:83], v[124:127]// 000000015AA4: D3D7007C 0DF2A51A
	v_mfma_i32_16x16x32_i8 v[124:127], a[28:29], v[84:85], v[124:127]// 000000015AAC: D3D7007C 0DF2A91C
	v_mfma_i32_16x16x32_i8 v[124:127], a[30:31], v[86:87], v[124:127]// 000000015AB4: D3D7007C 0DF2AD1E
	v_mfma_i32_16x16x32_i8 v[128:131], a[0:1], v[88:89], 0     // 000000015ABC: D3D70080 0A02B100
	v_mfma_i32_16x16x32_i8 v[128:131], a[2:3], v[90:91], v[128:131]// 000000015AC4: D3D70080 0E02B502
	v_mfma_i32_16x16x32_i8 v[128:131], a[4:5], v[92:93], v[128:131]// 000000015ACC: D3D70080 0E02B904
	v_mfma_i32_16x16x32_i8 v[128:131], a[6:7], v[94:95], v[128:131]// 000000015AD4: D3D70080 0E02BD06
	v_mfma_i32_16x16x32_i8 v[132:135], a[8:9], v[88:89], 0     // 000000015ADC: D3D70084 0A02B108
	v_mfma_i32_16x16x32_i8 v[132:135], a[10:11], v[90:91], v[132:135]// 000000015AE4: D3D70084 0E12B50A
	v_mfma_i32_16x16x32_i8 v[132:135], a[12:13], v[92:93], v[132:135]// 000000015AEC: D3D70084 0E12B90C
	v_mfma_i32_16x16x32_i8 v[132:135], a[14:15], v[94:95], v[132:135]// 000000015AF4: D3D70084 0E12BD0E
	v_mfma_i32_16x16x32_i8 v[136:139], a[16:17], v[88:89], 0   // 000000015AFC: D3D70088 0A02B110
	v_mfma_i32_16x16x32_i8 v[136:139], a[18:19], v[90:91], v[136:139]// 000000015B04: D3D70088 0E22B512
	v_mfma_i32_16x16x32_i8 v[136:139], a[20:21], v[92:93], v[136:139]// 000000015B0C: D3D70088 0E22B914
	v_mfma_i32_16x16x32_i8 v[136:139], a[22:23], v[94:95], v[136:139]// 000000015B14: D3D70088 0E22BD16
	v_mfma_i32_16x16x32_i8 v[140:143], a[24:25], v[88:89], 0   // 000000015B1C: D3D7008C 0A02B118
	v_mfma_i32_16x16x32_i8 v[140:143], a[26:27], v[90:91], v[140:143]// 000000015B24: D3D7008C 0E32B51A
	v_mfma_i32_16x16x32_i8 v[140:143], a[28:29], v[92:93], v[140:143]// 000000015B2C: D3D7008C 0E32B91C
	v_mfma_i32_16x16x32_i8 v[140:143], a[30:31], v[94:95], v[140:143]// 000000015B34: D3D7008C 0E32BD1E
	v_mfma_i32_16x16x32_i8 v[144:147], a[0:1], v[96:97], 0     // 000000015B3C: D3D70090 0A02C100
	v_mfma_i32_16x16x32_i8 v[144:147], a[2:3], v[98:99], v[144:147]// 000000015B44: D3D70090 0E42C502
	v_mfma_i32_16x16x32_i8 v[144:147], a[4:5], v[100:101], v[144:147]// 000000015B4C: D3D70090 0E42C904
	v_mfma_i32_16x16x32_i8 v[144:147], a[6:7], v[102:103], v[144:147]// 000000015B54: D3D70090 0E42CD06
	v_mfma_i32_16x16x32_i8 v[148:151], a[8:9], v[96:97], 0     // 000000015B5C: D3D70094 0A02C108
	v_mfma_i32_16x16x32_i8 v[148:151], a[10:11], v[98:99], v[148:151]// 000000015B64: D3D70094 0E52C50A
	v_mfma_i32_16x16x32_i8 v[148:151], a[12:13], v[100:101], v[148:151]// 000000015B6C: D3D70094 0E52C90C
	v_mfma_i32_16x16x32_i8 v[148:151], a[14:15], v[102:103], v[148:151]// 000000015B74: D3D70094 0E52CD0E
	v_mfma_i32_16x16x32_i8 v[152:155], a[16:17], v[96:97], 0   // 000000015B7C: D3D70098 0A02C110
	v_mfma_i32_16x16x32_i8 v[152:155], a[18:19], v[98:99], v[152:155]// 000000015B84: D3D70098 0E62C512
	v_mfma_i32_16x16x32_i8 v[152:155], a[20:21], v[100:101], v[152:155]// 000000015B8C: D3D70098 0E62C914
	v_mfma_i32_16x16x32_i8 v[152:155], a[22:23], v[102:103], v[152:155]// 000000015B94: D3D70098 0E62CD16
	v_mfma_i32_16x16x32_i8 v[156:159], a[24:25], v[96:97], 0   // 000000015B9C: D3D7009C 0A02C118
	v_mfma_i32_16x16x32_i8 v[156:159], a[26:27], v[98:99], v[156:159]// 000000015BA4: D3D7009C 0E72C51A
	v_mfma_i32_16x16x32_i8 v[156:159], a[28:29], v[100:101], v[156:159]// 000000015BAC: D3D7009C 0E72C91C
	v_mfma_i32_16x16x32_i8 v[156:159], a[30:31], v[102:103], v[156:159]// 000000015BB4: D3D7009C 0E72CD1E
	buffer_load_dword v43, v3, s[32:35], 0 offen               // 000000015BBC: E0501000 80082B03
	v_mov_b32_dpp v64, v42 row_shr:4 row_mask:0xf bank_mask:0xf// 000000015BC4: 7E8002FA FF01142A
	v_mov_b32_dpp v65, v42 row_shl:4 row_mask:0xf bank_mask:0xf// 000000015BCC: 7E8202FA FF01042A
	v_cndmask_b32_e64 v248, v42, v64, s[44:45]                 // 000000015BD4: D10000F8 00B2812A
	v_cndmask_b32_e64 v249, v65, v42, s[44:45]                 // 000000015BDC: D10000F9 00B25541
	v_mov_b32_dpp v64, v248 row_shr:8 row_mask:0xf bank_mask:0xf// 000000015BE4: 7E8002FA FF0118F8
	v_mov_b32_dpp v65, v248 row_shl:8 row_mask:0xf bank_mask:0xf// 000000015BEC: 7E8202FA FF0108F8
	v_mov_b32_dpp v66, v249 row_shr:8 row_mask:0xf bank_mask:0xf// 000000015BF4: 7E8402FA FF0118F9
	v_mov_b32_dpp v67, v249 row_shl:8 row_mask:0xf bank_mask:0xf// 000000015BFC: 7E8602FA FF0108F9
	v_mov_b32_e32 v68, v248                                    // 000000015C04: 7E8803F8
	v_mov_b32_e32 v69, v249                                    // 000000015C08: 7E8A03F9
	v_cndmask_b32_e64 v248, v68, v64, s[42:43]                 // 000000015C0C: D10000F8 00AA8144
	v_cndmask_b32_e64 v250, v68, v65, s[78:79]                 // 000000015C14: D10000FA 013A8344
	v_cndmask_b32_e64 v249, v69, v66, s[42:43]                 // 000000015C1C: D10000F9 00AA8545
	v_cndmask_b32_e64 v251, v69, v67, s[78:79]                 // 000000015C24: D10000FB 013A8745
	v_mov_b32_dpp v64, v57 row_shr:4 row_mask:0xf bank_mask:0xf// 000000015C2C: 7E8002FA FF011439
	v_mov_b32_dpp v65, v57 row_shl:4 row_mask:0xf bank_mask:0xf// 000000015C34: 7E8202FA FF010439
	v_cndmask_b32_e64 v252, v57, v64, s[44:45]                 // 000000015C3C: D10000FC 00B28139
	v_cndmask_b32_e64 v253, v65, v57, s[44:45]                 // 000000015C44: D10000FD 00B27341
	v_mov_b32_dpp v64, v252 row_shr:8 row_mask:0xf bank_mask:0xf// 000000015C4C: 7E8002FA FF0118FC
	v_mov_b32_dpp v65, v252 row_shl:8 row_mask:0xf bank_mask:0xf// 000000015C54: 7E8202FA FF0108FC
	v_mov_b32_dpp v66, v253 row_shr:8 row_mask:0xf bank_mask:0xf// 000000015C5C: 7E8402FA FF0118FD
	v_mov_b32_dpp v67, v253 row_shl:8 row_mask:0xf bank_mask:0xf// 000000015C64: 7E8602FA FF0108FD
	v_mov_b32_e32 v68, v252                                    // 000000015C6C: 7E8803FC
	v_mov_b32_e32 v69, v253                                    // 000000015C70: 7E8A03FD
	v_cndmask_b32_e64 v252, v68, v64, s[42:43]                 // 000000015C74: D10000FC 00AA8144
	v_cndmask_b32_e64 v254, v68, v65, s[78:79]                 // 000000015C7C: D10000FE 013A8344
	v_cndmask_b32_e64 v253, v69, v66, s[42:43]                 // 000000015C84: D10000FD 00AA8545
	v_cndmask_b32_e64 v255, v69, v67, s[78:79]                 // 000000015C8C: D10000FF 013A8745
	buffer_load_dword v58, v56, s[36:39], 0 offen              // 000000015C94: E0501000 80093A38
	v_cvt_f32_i32_e32 v112, v112                               // 000000015C9C: 7EE00B70
	v_cvt_f32_i32_e32 v113, v113                               // 000000015CA0: 7EE20B71
	v_cvt_f32_i32_e32 v114, v114                               // 000000015CA4: 7EE40B72
	v_cvt_f32_i32_e32 v115, v115                               // 000000015CA8: 7EE60B73
	v_cvt_f32_i32_e32 v116, v116                               // 000000015CAC: 7EE80B74
	v_cvt_f32_i32_e32 v117, v117                               // 000000015CB0: 7EEA0B75
	v_cvt_f32_i32_e32 v118, v118                               // 000000015CB4: 7EEC0B76
	v_cvt_f32_i32_e32 v119, v119                               // 000000015CB8: 7EEE0B77
	v_cvt_f32_i32_e32 v120, v120                               // 000000015CBC: 7EF00B78
	v_cvt_f32_i32_e32 v121, v121                               // 000000015CC0: 7EF20B79
	v_cvt_f32_i32_e32 v122, v122                               // 000000015CC4: 7EF40B7A
	v_cvt_f32_i32_e32 v123, v123                               // 000000015CC8: 7EF60B7B
	v_cvt_f32_i32_e32 v124, v124                               // 000000015CCC: 7EF80B7C
	v_cvt_f32_i32_e32 v125, v125                               // 000000015CD0: 7EFA0B7D
	v_cvt_f32_i32_e32 v126, v126                               // 000000015CD4: 7EFC0B7E
	v_cvt_f32_i32_e32 v127, v127                               // 000000015CD8: 7EFE0B7F
	v_mul_f32_e32 v112, v18, v112                              // 000000015CDC: 0AE0E112
	v_mul_f32_e32 v113, v18, v113                              // 000000015CE0: 0AE2E312
	v_mul_f32_e32 v114, v18, v114                              // 000000015CE4: 0AE4E512
	v_mul_f32_e32 v115, v18, v115                              // 000000015CE8: 0AE6E712
	v_mul_f32_e32 v116, v18, v116                              // 000000015CEC: 0AE8E912
	v_mul_f32_e32 v117, v18, v117                              // 000000015CF0: 0AEAEB12
	v_mul_f32_e32 v118, v18, v118                              // 000000015CF4: 0AECED12
	v_mul_f32_e32 v119, v18, v119                              // 000000015CF8: 0AEEEF12
	v_mul_f32_e32 v120, v18, v120                              // 000000015CFC: 0AF0F112
	v_mul_f32_e32 v121, v18, v121                              // 000000015D00: 0AF2F312
	v_mul_f32_e32 v122, v18, v122                              // 000000015D04: 0AF4F512
	v_mul_f32_e32 v123, v18, v123                              // 000000015D08: 0AF6F712
	v_mul_f32_e32 v124, v18, v124                              // 000000015D0C: 0AF8F912
	v_mul_f32_e32 v125, v18, v125                              // 000000015D10: 0AFAFB12
	v_mul_f32_e32 v126, v18, v126                              // 000000015D14: 0AFCFD12
	v_mul_f32_e32 v127, v18, v127                              // 000000015D18: 0AFEFF12
	buffer_load_dwordx4 a[48:51], v28, s[16:19], 0 offen       // 000000015D1C: E05C1000 8084301C
	v_mul_f32_dpp v112, v248, v112 quad_perm:[0,0,0,0] row_mask:0xf bank_mask:0xf// 000000015D24: 0AE0E0FA FF0000F8
	v_mul_f32_dpp v113, v248, v113 quad_perm:[1,1,1,1] row_mask:0xf bank_mask:0xf// 000000015D2C: 0AE2E2FA FF0055F8
	v_mul_f32_dpp v114, v248, v114 quad_perm:[2,2,2,2] row_mask:0xf bank_mask:0xf// 000000015D34: 0AE4E4FA FF00AAF8
	v_mul_f32_dpp v115, v248, v115 quad_perm:[3,3,3,3] row_mask:0xf bank_mask:0xf// 000000015D3C: 0AE6E6FA FF00FFF8
	v_mul_f32_dpp v116, v249, v116 quad_perm:[0,0,0,0] row_mask:0xf bank_mask:0xf// 000000015D44: 0AE8E8FA FF0000F9
	v_mul_f32_dpp v117, v249, v117 quad_perm:[1,1,1,1] row_mask:0xf bank_mask:0xf// 000000015D4C: 0AEAEAFA FF0055F9
	v_mul_f32_dpp v118, v249, v118 quad_perm:[2,2,2,2] row_mask:0xf bank_mask:0xf// 000000015D54: 0AECECFA FF00AAF9
	v_mul_f32_dpp v119, v249, v119 quad_perm:[3,3,3,3] row_mask:0xf bank_mask:0xf// 000000015D5C: 0AEEEEFA FF00FFF9
	v_mul_f32_dpp v120, v250, v120 quad_perm:[0,0,0,0] row_mask:0xf bank_mask:0xf// 000000015D64: 0AF0F0FA FF0000FA
	v_mul_f32_dpp v121, v250, v121 quad_perm:[1,1,1,1] row_mask:0xf bank_mask:0xf// 000000015D6C: 0AF2F2FA FF0055FA
	v_mul_f32_dpp v122, v250, v122 quad_perm:[2,2,2,2] row_mask:0xf bank_mask:0xf// 000000015D74: 0AF4F4FA FF00AAFA
	v_mul_f32_dpp v123, v250, v123 quad_perm:[3,3,3,3] row_mask:0xf bank_mask:0xf// 000000015D7C: 0AF6F6FA FF00FFFA
	v_mul_f32_dpp v124, v251, v124 quad_perm:[0,0,0,0] row_mask:0xf bank_mask:0xf// 000000015D84: 0AF8F8FA FF0000FB
	v_mul_f32_dpp v125, v251, v125 quad_perm:[1,1,1,1] row_mask:0xf bank_mask:0xf// 000000015D8C: 0AFAFAFA FF0055FB
	v_mul_f32_dpp v126, v251, v126 quad_perm:[2,2,2,2] row_mask:0xf bank_mask:0xf// 000000015D94: 0AFCFCFA FF00AAFB
	v_mul_f32_dpp v127, v251, v127 quad_perm:[3,3,3,3] row_mask:0xf bank_mask:0xf// 000000015D9C: 0AFEFEFA FF00FFFB
	buffer_load_dwordx4 a[52:55], v28, s[16:19], 0 offen offset:1024// 000000015DA4: E05C1400 8084341C
	s_cmp_le_i32 s90, s89                                      // 000000015DAC: BF05595A
	s_cbranch_scc1 label_4F5E                                  // 000000015DB0: BF850071
	v_mov_b32_e32 v66, 0xff800000                              // 000000015DB4: 7E8402FF FF800000
	s_mov_b32 s60, s90                                         // 000000015DBC: BEBC005A
	s_add_u32 s61, s89, 0xff                                   // 000000015DC0: 803DFF59 000000FF
	v_mov_b32_e32 v64, s61                                     // 000000015DC8: 7E80023D
	v_lshrrev_b32_e32 v240, 4, v0                              // 000000015DCC: 21E00084
	v_mul_i32_i24_e32 v240, 4, v240                            // 000000015DD0: 0DE1E084
	v_add_u32_e32 v240, s60, v240                              // 000000015DD4: 69E1E03C
	s_mov_b32 s61, 0                                           // 000000015DD8: BEBD0080
	s_mul_i32 s60, 16, s7                                      // 000000015DDC: 923C0790
	v_sub_u32_e64 v240, v240, s61                              // 000000015DE0: D13500F0 00007BF0
	v_add_u32_e32 v240, s60, v240                              // 000000015DE8: 69E1E03C
	v_add_u32_e32 v241, 1, v240                                // 000000015DEC: 69E3E081
	v_add_u32_e32 v242, 2, v240                                // 000000015DF0: 69E5E082
	v_add_u32_e32 v243, 3, v240                                // 000000015DF4: 69E7E083
	v_cmp_le_u32_e64 s[40:41], v240, v64                       // 000000015DF8: D0CB0028 000281F0
	v_add_u32_e32 v240, 64, v240                               // 000000015E00: 69E1E0C0
	s_nop 0                                                    // 000000015E04: BF800000
	v_cndmask_b32_e64 v112, v66, v112, s[40:41]                // 000000015E08: D1000070 00A2E142
	v_cmp_le_u32_e64 s[40:41], v241, v64                       // 000000015E10: D0CB0028 000281F1
	v_add_u32_e32 v241, 64, v241                               // 000000015E18: 69E3E2C0
	s_nop 0                                                    // 000000015E1C: BF800000
	v_cndmask_b32_e64 v113, v66, v113, s[40:41]                // 000000015E20: D1000071 00A2E342
	v_cmp_le_u32_e64 s[40:41], v242, v64                       // 000000015E28: D0CB0028 000281F2
	v_add_u32_e32 v242, 64, v242                               // 000000015E30: 69E5E4C0
	s_nop 0                                                    // 000000015E34: BF800000
	v_cndmask_b32_e64 v114, v66, v114, s[40:41]                // 000000015E38: D1000072 00A2E542
	v_cmp_le_u32_e64 s[40:41], v243, v64                       // 000000015E40: D0CB0028 000281F3
	v_add_u32_e32 v243, 64, v243                               // 000000015E48: 69E7E6C0
	s_nop 0                                                    // 000000015E4C: BF800000
	v_cndmask_b32_e64 v115, v66, v115, s[40:41]                // 000000015E50: D1000073 00A2E742
	v_cmp_le_u32_e64 s[40:41], v240, v64                       // 000000015E58: D0CB0028 000281F0
	v_add_u32_e32 v240, 64, v240                               // 000000015E60: 69E1E0C0
	s_nop 0                                                    // 000000015E64: BF800000
	v_cndmask_b32_e64 v116, v66, v116, s[40:41]                // 000000015E68: D1000074 00A2E942
	v_cmp_le_u32_e64 s[40:41], v241, v64                       // 000000015E70: D0CB0028 000281F1
	v_add_u32_e32 v241, 64, v241                               // 000000015E78: 69E3E2C0
	s_nop 0                                                    // 000000015E7C: BF800000
	v_cndmask_b32_e64 v117, v66, v117, s[40:41]                // 000000015E80: D1000075 00A2EB42
	v_cmp_le_u32_e64 s[40:41], v242, v64                       // 000000015E88: D0CB0028 000281F2
	v_add_u32_e32 v242, 64, v242                               // 000000015E90: 69E5E4C0
	s_nop 0                                                    // 000000015E94: BF800000
	v_cndmask_b32_e64 v118, v66, v118, s[40:41]                // 000000015E98: D1000076 00A2ED42
	v_cmp_le_u32_e64 s[40:41], v243, v64                       // 000000015EA0: D0CB0028 000281F3
	v_add_u32_e32 v243, 64, v243                               // 000000015EA8: 69E7E6C0
	s_nop 0                                                    // 000000015EAC: BF800000
	v_cndmask_b32_e64 v119, v66, v119, s[40:41]                // 000000015EB0: D1000077 00A2EF42
	v_cmp_le_u32_e64 s[40:41], v240, v64                       // 000000015EB8: D0CB0028 000281F0
	v_add_u32_e32 v240, 64, v240                               // 000000015EC0: 69E1E0C0
	s_nop 0                                                    // 000000015EC4: BF800000
	v_cndmask_b32_e64 v120, v66, v120, s[40:41]                // 000000015EC8: D1000078 00A2F142
	v_cmp_le_u32_e64 s[40:41], v241, v64                       // 000000015ED0: D0CB0028 000281F1
	v_add_u32_e32 v241, 64, v241                               // 000000015ED8: 69E3E2C0
	s_nop 0                                                    // 000000015EDC: BF800000
	v_cndmask_b32_e64 v121, v66, v121, s[40:41]                // 000000015EE0: D1000079 00A2F342
	v_cmp_le_u32_e64 s[40:41], v242, v64                       // 000000015EE8: D0CB0028 000281F2
	v_add_u32_e32 v242, 64, v242                               // 000000015EF0: 69E5E4C0
	s_nop 0                                                    // 000000015EF4: BF800000
	v_cndmask_b32_e64 v122, v66, v122, s[40:41]                // 000000015EF8: D100007A 00A2F542
	v_cmp_le_u32_e64 s[40:41], v243, v64                       // 000000015F00: D0CB0028 000281F3
	v_add_u32_e32 v243, 64, v243                               // 000000015F08: 69E7E6C0
	s_nop 0                                                    // 000000015F0C: BF800000
	v_cndmask_b32_e64 v123, v66, v123, s[40:41]                // 000000015F10: D100007B 00A2F742
	v_cmp_le_u32_e64 s[40:41], v240, v64                       // 000000015F18: D0CB0028 000281F0
	v_add_u32_e32 v240, 64, v240                               // 000000015F20: 69E1E0C0
	s_nop 0                                                    // 000000015F24: BF800000
	v_cndmask_b32_e64 v124, v66, v124, s[40:41]                // 000000015F28: D100007C 00A2F942
	v_cmp_le_u32_e64 s[40:41], v241, v64                       // 000000015F30: D0CB0028 000281F1
	v_add_u32_e32 v241, 64, v241                               // 000000015F38: 69E3E2C0
	s_nop 0                                                    // 000000015F3C: BF800000
	v_cndmask_b32_e64 v125, v66, v125, s[40:41]                // 000000015F40: D100007D 00A2FB42
	v_cmp_le_u32_e64 s[40:41], v242, v64                       // 000000015F48: D0CB0028 000281F2
	v_add_u32_e32 v242, 64, v242                               // 000000015F50: 69E5E4C0
	s_nop 0                                                    // 000000015F54: BF800000
	v_cndmask_b32_e64 v126, v66, v126, s[40:41]                // 000000015F58: D100007E 00A2FD42
	v_cmp_le_u32_e64 s[40:41], v243, v64                       // 000000015F60: D0CB0028 000281F3
	v_add_u32_e32 v243, 64, v243                               // 000000015F68: 69E7E6C0
	s_nop 0                                                    // 000000015F6C: BF800000
	v_cndmask_b32_e64 v127, v66, v127, s[40:41]                // 000000015F70: D100007F 00A2FF42

0000000000015f78 <label_4F5E>:
	v_mov_b32_e32 v48, v112                                    // 000000015F78: 7E600370
	v_max3_f32 v48, v112, v113, v48                            // 000000015F7C: D1D30030 04C2E370
	v_max3_f32 v48, v114, v115, v48                            // 000000015F84: D1D30030 04C2E772
	v_max3_f32 v48, v116, v117, v48                            // 000000015F8C: D1D30030 04C2EB74
	v_max3_f32 v48, v118, v119, v48                            // 000000015F94: D1D30030 04C2EF76
	v_max3_f32 v48, v120, v121, v48                            // 000000015F9C: D1D30030 04C2F378
	v_max3_f32 v48, v122, v123, v48                            // 000000015FA4: D1D30030 04C2F77A
	v_max3_f32 v48, v124, v125, v48                            // 000000015FAC: D1D30030 04C2FB7C
	v_max3_f32 v48, v126, v127, v48                            // 000000015FB4: D1D30030 04C2FF7E
	ds_write_b32 v8, v48 offset:16896                          // 000000015FBC: D81A4200 00003008
	buffer_load_dwordx4 a[56:59], v29, s[16:19], 0 offen       // 000000015FC4: E05C1000 8084381D
	v_mul_u32_u24_dpp v64, v17, v54 row_newbcast:1 row_mask:0xf bank_mask:0xf// 000000015FCC: 10806CFA FF015111
	v_mul_u32_u24_dpp v65, v17, v54 row_newbcast:5 row_mask:0xf bank_mask:0xf// 000000015FD4: 10826CFA FF015511
	v_mul_u32_u24_dpp v66, v17, v54 row_newbcast:9 row_mask:0xf bank_mask:0xf// 000000015FDC: 10846CFA FF015911
	v_mul_u32_u24_dpp v67, v17, v54 row_newbcast:13 row_mask:0xf bank_mask:0xf// 000000015FE4: 10866CFA FF015D11
	v_add_u32_e32 v34, v64, v6                                 // 000000015FEC: 68440D40
	v_add_u32_e32 v35, v65, v6                                 // 000000015FF0: 68460D41
	v_add_u32_e32 v36, v66, v6                                 // 000000015FF4: 68480D42
	v_add_u32_e32 v37, v67, v6                                 // 000000015FF8: 684A0D43
	v_mul_f32_e32 v208, v49, v208                              // 000000015FFC: 0BA1A131
	v_mul_f32_e32 v209, v49, v209                              // 000000016000: 0BA3A331
	v_mul_f32_e32 v210, v49, v210                              // 000000016004: 0BA5A531
	v_mul_f32_e32 v211, v49, v211                              // 000000016008: 0BA7A731
	v_mul_f32_e32 v212, v49, v212                              // 00000001600C: 0BA9A931
	v_mul_f32_e32 v213, v49, v213                              // 000000016010: 0BABAB31
	v_mul_f32_e32 v214, v49, v214                              // 000000016014: 0BADAD31
	v_mul_f32_e32 v215, v49, v215                              // 000000016018: 0BAFAF31
	s_waitcnt lgkmcnt(0)                                       // 00000001601C: BF8CC07F
	s_barrier                                                  // 000000016020: BF8A0000
	ds_read_b32 v64, v7 offset:16896                           // 000000016024: D86C4200 40000007
	ds_read_b32 v65, v7 offset:16960                           // 00000001602C: D86C4240 41000007
	ds_read_b32 v66, v7 offset:17024                           // 000000016034: D86C4280 42000007
	ds_read_b32 v67, v7 offset:17088                           // 00000001603C: D86C42C0 43000007
	ds_read_b32 v68, v7 offset:17152                           // 000000016044: D86C4300 44000007
	ds_read_b32 v69, v7 offset:17216                           // 00000001604C: D86C4340 45000007
	ds_read_b32 v70, v7 offset:17280                           // 000000016054: D86C4380 46000007
	ds_read_b32 v71, v7 offset:17344                           // 00000001605C: D86C43C0 47000007
	ds_read_b32 v72, v7 offset:17408                           // 000000016064: D86C4400 48000007
	ds_read_b32 v73, v7 offset:17472                           // 00000001606C: D86C4440 49000007
	ds_read_b32 v74, v7 offset:17536                           // 000000016074: D86C4480 4A000007
	ds_read_b32 v75, v7 offset:17600                           // 00000001607C: D86C44C0 4B000007
	ds_read_b32 v76, v7 offset:17664                           // 000000016084: D86C4500 4C000007
	ds_read_b32 v77, v7 offset:17728                           // 00000001608C: D86C4540 4D000007
	ds_read_b32 v78, v7 offset:17792                           // 000000016094: D86C4580 4E000007
	ds_read_b32 v79, v7 offset:17856                           // 00000001609C: D86C45C0 4F000007
	buffer_load_dwordx4 a[60:63], v29, s[16:19], 0 offen offset:1024// 0000000160A4: E05C1400 80843C1D
	v_cvt_f32_i32_e32 v176, v176                               // 0000000160AC: 7F600BB0
	v_cvt_f32_i32_e32 v177, v177                               // 0000000160B0: 7F620BB1
	v_cvt_f32_i32_e32 v178, v178                               // 0000000160B4: 7F640BB2
	v_cvt_f32_i32_e32 v179, v179                               // 0000000160B8: 7F660BB3
	v_cvt_f32_i32_e32 v180, v180                               // 0000000160BC: 7F680BB4
	v_cvt_f32_i32_e32 v181, v181                               // 0000000160C0: 7F6A0BB5
	v_cvt_f32_i32_e32 v182, v182                               // 0000000160C4: 7F6C0BB6
	v_cvt_f32_i32_e32 v183, v183                               // 0000000160C8: 7F6E0BB7
	v_mul_f32_e32 v176, v44, v176                              // 0000000160CC: 0B61612C
	v_mul_f32_e32 v177, v44, v177                              // 0000000160D0: 0B63632C
	v_mul_f32_e32 v178, v44, v178                              // 0000000160D4: 0B65652C
	v_mul_f32_e32 v179, v44, v179                              // 0000000160D8: 0B67672C
	v_mul_f32_e32 v180, v44, v180                              // 0000000160DC: 0B69692C
	v_mul_f32_e32 v181, v44, v181                              // 0000000160E0: 0B6B6B2C
	v_mul_f32_e32 v182, v44, v182                              // 0000000160E4: 0B6D6D2C
	v_mul_f32_e32 v183, v44, v183                              // 0000000160E8: 0B6F6F2C
	s_waitcnt lgkmcnt(0)                                       // 0000000160EC: BF8CC07F
	v_max3_f32 v48, v64, v65, v48                              // 0000000160F0: D1D30030 04C28340
	v_max3_f32 v48, v66, v67, v48                              // 0000000160F8: D1D30030 04C28742
	v_max3_f32 v48, v68, v69, v48                              // 000000016100: D1D30030 04C28B44
	v_max3_f32 v48, v70, v71, v48                              // 000000016108: D1D30030 04C28F46
	v_max3_f32 v48, v72, v73, v48                              // 000000016110: D1D30030 04C29348
	v_max3_f32 v48, v74, v75, v48                              // 000000016118: D1D30030 04C2974A
	v_max3_f32 v48, v76, v77, v48                              // 000000016120: D1D30030 04C29B4C
	v_max3_f32 v48, v78, v79, v48                              // 000000016128: D1D30030 04C29F4E
	buffer_load_dwordx4 a[96:99], v34, s[20:23], 0 offen       // 000000016130: E05C1000 80856022
	v_mov_b32_e32 v64, 0xff800000                              // 000000016138: 7E8002FF FF800000
	v_cmp_eq_u32_e64 s[40:41], v64, v11                        // 000000016140: D0CA0028 00021740
	s_nop 1                                                    // 000000016148: BF800001
	v_max_f32_e32 v15, v48, v11                                // 00000001614C: 161E1730
	v_mul_f32_e32 v53, s64, v15                                // 000000016150: 0A6A1E40
	v_fma_f32 v112, v112, s64, -v53                            // 000000016154: D1CB0070 84D48170
	v_fma_f32 v113, v113, s64, -v53                            // 00000001615C: D1CB0071 84D48171
	v_fma_f32 v114, v114, s64, -v53                            // 000000016164: D1CB0072 84D48172
	v_fma_f32 v115, v115, s64, -v53                            // 00000001616C: D1CB0073 84D48173
	v_fma_f32 v116, v116, s64, -v53                            // 000000016174: D1CB0074 84D48174
	v_fma_f32 v117, v117, s64, -v53                            // 00000001617C: D1CB0075 84D48175
	v_fma_f32 v118, v118, s64, -v53                            // 000000016184: D1CB0076 84D48176
	v_fma_f32 v119, v119, s64, -v53                            // 00000001618C: D1CB0077 84D48177
	v_fma_f32 v120, v120, s64, -v53                            // 000000016194: D1CB0078 84D48178
	v_fma_f32 v121, v121, s64, -v53                            // 00000001619C: D1CB0079 84D48179
	v_fma_f32 v122, v122, s64, -v53                            // 0000000161A4: D1CB007A 84D4817A
	v_fma_f32 v123, v123, s64, -v53                            // 0000000161AC: D1CB007B 84D4817B
	v_fma_f32 v124, v124, s64, -v53                            // 0000000161B4: D1CB007C 84D4817C
	v_fma_f32 v125, v125, s64, -v53                            // 0000000161BC: D1CB007D 84D4817D
	v_fma_f32 v126, v126, s64, -v53                            // 0000000161C4: D1CB007E 84D4817E
	v_fma_f32 v127, v127, s64, -v53                            // 0000000161CC: D1CB007F 84D4817F
	buffer_load_dwordx4 a[100:103], v35, s[20:23], 0 offen     // 0000000161D4: E05C1000 80856423
	v_exp_f32_e32 v112, v112                                   // 0000000161DC: 7EE04170
	v_exp_f32_e32 v113, v113                                   // 0000000161E0: 7EE24171
	v_exp_f32_e32 v114, v114                                   // 0000000161E4: 7EE44172
	v_exp_f32_e32 v115, v115                                   // 0000000161E8: 7EE64173
	v_exp_f32_e32 v116, v116                                   // 0000000161EC: 7EE84174
	v_exp_f32_e32 v117, v117                                   // 0000000161F0: 7EEA4175
	v_exp_f32_e32 v118, v118                                   // 0000000161F4: 7EEC4176
	v_exp_f32_e32 v119, v119                                   // 0000000161F8: 7EEE4177
	v_exp_f32_e32 v120, v120                                   // 0000000161FC: 7EF04178
	v_exp_f32_e32 v121, v121                                   // 000000016200: 7EF24179
	v_exp_f32_e32 v122, v122                                   // 000000016204: 7EF4417A
	v_exp_f32_e32 v123, v123                                   // 000000016208: 7EF6417B
	v_exp_f32_e32 v124, v124                                   // 00000001620C: 7EF8417C
	v_exp_f32_e32 v125, v125                                   // 000000016210: 7EFA417D
	v_exp_f32_e32 v126, v126                                   // 000000016214: 7EFC417E
	v_exp_f32_e32 v127, v127                                   // 000000016218: 7EFE417F
	buffer_load_dwordx4 a[104:107], v36, s[20:23], 0 offen     // 00000001621C: E05C1000 80856824
	v_mul_f32_dpp v240, v252, v112 quad_perm:[0,0,0,0] row_mask:0xf bank_mask:0xf// 000000016224: 0BE0E0FA FF0000FC
	v_mul_f32_dpp v241, v252, v113 quad_perm:[1,1,1,1] row_mask:0xf bank_mask:0xf// 00000001622C: 0BE2E2FA FF0055FC
	v_mul_f32_dpp v242, v252, v114 quad_perm:[2,2,2,2] row_mask:0xf bank_mask:0xf// 000000016234: 0BE4E4FA FF00AAFC
	v_mul_f32_dpp v243, v252, v115 quad_perm:[3,3,3,3] row_mask:0xf bank_mask:0xf// 00000001623C: 0BE6E6FA FF00FFFC
	v_mul_f32_dpp v244, v253, v116 quad_perm:[0,0,0,0] row_mask:0xf bank_mask:0xf// 000000016244: 0BE8E8FA FF0000FD
	v_mul_f32_dpp v245, v253, v117 quad_perm:[1,1,1,1] row_mask:0xf bank_mask:0xf// 00000001624C: 0BEAEAFA FF0055FD
	v_mul_f32_dpp v246, v253, v118 quad_perm:[2,2,2,2] row_mask:0xf bank_mask:0xf// 000000016254: 0BECECFA FF00AAFD
	v_mul_f32_dpp v247, v253, v119 quad_perm:[3,3,3,3] row_mask:0xf bank_mask:0xf// 00000001625C: 0BEEEEFA FF00FFFD
	v_mul_f32_dpp v248, v254, v120 quad_perm:[0,0,0,0] row_mask:0xf bank_mask:0xf// 000000016264: 0BF0F0FA FF0000FE
	v_mul_f32_dpp v249, v254, v121 quad_perm:[1,1,1,1] row_mask:0xf bank_mask:0xf// 00000001626C: 0BF2F2FA FF0055FE
	v_mul_f32_dpp v250, v254, v122 quad_perm:[2,2,2,2] row_mask:0xf bank_mask:0xf// 000000016274: 0BF4F4FA FF00AAFE
	v_mul_f32_dpp v251, v254, v123 quad_perm:[3,3,3,3] row_mask:0xf bank_mask:0xf// 00000001627C: 0BF6F6FA FF00FFFE
	v_mul_f32_dpp v252, v255, v124 quad_perm:[0,0,0,0] row_mask:0xf bank_mask:0xf// 000000016284: 0BF8F8FA FF0000FF
	v_mul_f32_dpp v253, v255, v125 quad_perm:[1,1,1,1] row_mask:0xf bank_mask:0xf// 00000001628C: 0BFAFAFA FF0055FF
	v_mul_f32_dpp v254, v255, v126 quad_perm:[2,2,2,2] row_mask:0xf bank_mask:0xf// 000000016294: 0BFCFCFA FF00AAFF
	v_mul_f32_dpp v255, v255, v127 quad_perm:[3,3,3,3] row_mask:0xf bank_mask:0xf// 00000001629C: 0BFEFEFA FF00FFFF
	v_mov_b32_e32 v48, 0x358637bd                              // 0000000162A4: 7E6002FF 358637BD
	v_max3_f32 v48, |v240|, |v241|, v48                        // 0000000162AC: D1D30330 04C3E3F0
	v_max3_f32 v48, |v242|, |v243|, v48                        // 0000000162B4: D1D30330 04C3E7F2
	v_max3_f32 v48, |v244|, |v245|, v48                        // 0000000162BC: D1D30330 04C3EBF4
	v_max3_f32 v48, |v246|, |v247|, v48                        // 0000000162C4: D1D30330 04C3EFF6
	v_max3_f32 v48, |v248|, |v249|, v48                        // 0000000162CC: D1D30330 04C3F3F8
	v_max3_f32 v48, |v250|, |v251|, v48                        // 0000000162D4: D1D30330 04C3F7FA
	v_max3_f32 v48, |v252|, |v253|, v48                        // 0000000162DC: D1D30330 04C3FBFC
	v_max3_f32 v48, |v254|, |v255|, v48                        // 0000000162E4: D1D30330 04C3FFFE
	buffer_load_dwordx4 a[108:111], v37, s[20:23], 0 offen     // 0000000162EC: E05C1000 80856C25
	ds_write_b32 v8, v48 offset:20992                          // 0000000162F4: D81A5200 00003008
	v_sub_f32_e32 v49, v11, v15                                // 0000000162FC: 04621F0B
	v_cndmask_b32_e64 v49, v49, 0, s[40:41]                    // 000000016300: D1000031 00A10131
	v_mov_b32_e32 v11, v15                                     // 000000016308: 7E16030F
	v_mul_f32_e32 v49, s64, v49                                // 00000001630C: 0A626240
	v_exp_f32_e32 v49, v49                                     // 000000016310: 7E624131
	s_waitcnt lgkmcnt(0)                                       // 000000016314: BF8CC07F
	s_barrier                                                  // 000000016318: BF8A0000
	ds_read_b32 v64, v7 offset:20992                           // 00000001631C: D86C5200 40000007
	ds_read_b32 v65, v7 offset:21056                           // 000000016324: D86C5240 41000007
	ds_read_b32 v66, v7 offset:21120                           // 00000001632C: D86C5280 42000007
	ds_read_b32 v67, v7 offset:21184                           // 000000016334: D86C52C0 43000007
	ds_read_b32 v68, v7 offset:21248                           // 00000001633C: D86C5300 44000007
	ds_read_b32 v69, v7 offset:21312                           // 000000016344: D86C5340 45000007
	ds_read_b32 v70, v7 offset:21376                           // 00000001634C: D86C5380 46000007
	ds_read_b32 v71, v7 offset:21440                           // 000000016354: D86C53C0 47000007
	ds_read_b32 v72, v7 offset:21504                           // 00000001635C: D86C5400 48000007
	ds_read_b32 v73, v7 offset:21568                           // 000000016364: D86C5440 49000007
	ds_read_b32 v74, v7 offset:21632                           // 00000001636C: D86C5480 4A000007
	ds_read_b32 v75, v7 offset:21696                           // 000000016374: D86C54C0 4B000007
	ds_read_b32 v76, v7 offset:21760                           // 00000001637C: D86C5500 4C000007
	ds_read_b32 v77, v7 offset:21824                           // 000000016384: D86C5540 4D000007
	ds_read_b32 v78, v7 offset:21888                           // 00000001638C: D86C5580 4E000007
	ds_read_b32 v79, v7 offset:21952                           // 000000016394: D86C55C0 4F000007
	v_mul_f32_e32 v38, v49, v38                                // 00000001639C: 0A4C4D31
	v_mov_b32_e32 v15, v112                                    // 0000000163A0: 7E1E0370
	v_add_f32_e32 v15, v113, v15                               // 0000000163A4: 021E1F71
	v_add_f32_e32 v15, v114, v15                               // 0000000163A8: 021E1F72
	v_add_f32_e32 v15, v115, v15                               // 0000000163AC: 021E1F73
	v_add_f32_e32 v15, v116, v15                               // 0000000163B0: 021E1F74
	v_add_f32_e32 v15, v117, v15                               // 0000000163B4: 021E1F75
	v_add_f32_e32 v15, v118, v15                               // 0000000163B8: 021E1F76
	v_add_f32_e32 v15, v119, v15                               // 0000000163BC: 021E1F77
	v_add_f32_e32 v15, v120, v15                               // 0000000163C0: 021E1F78
	v_add_f32_e32 v15, v121, v15                               // 0000000163C4: 021E1F79
	v_add_f32_e32 v15, v122, v15                               // 0000000163C8: 021E1F7A
	v_add_f32_e32 v15, v123, v15                               // 0000000163CC: 021E1F7B
	v_add_f32_e32 v15, v124, v15                               // 0000000163D0: 021E1F7C
	v_add_f32_e32 v15, v125, v15                               // 0000000163D4: 021E1F7D
	v_add_f32_e32 v15, v126, v15                               // 0000000163D8: 021E1F7E
	v_add_f32_e32 v15, v127, v15                               // 0000000163DC: 021E1F7F
	v_add_f32_e32 v38, v15, v38                                // 0000000163E0: 024C4D0F
	s_waitcnt lgkmcnt(0)                                       // 0000000163E4: BF8CC07F
	v_max3_f32 v48, |v64|, |v65|, v48                          // 0000000163E8: D1D30330 04C28340
	v_max3_f32 v48, |v66|, |v67|, v48                          // 0000000163F0: D1D30330 04C28742
	v_max3_f32 v48, |v68|, |v69|, v48                          // 0000000163F8: D1D30330 04C28B44
	v_max3_f32 v48, |v70|, |v71|, v48                          // 000000016400: D1D30330 04C28F46
	v_max3_f32 v48, |v72|, |v73|, v48                          // 000000016408: D1D30330 04C29348
	v_max3_f32 v48, |v74|, |v75|, v48                          // 000000016410: D1D30330 04C2974A
	v_max3_f32 v48, |v76|, |v77|, v48                          // 000000016418: D1D30330 04C29B4C
	v_max3_f32 v48, |v78|, |v79|, v48                          // 000000016420: D1D30330 04C29F4E
	s_nop 2                                                    // 000000016428: BF800002
	v_rcp_f32_e32 v48, v48                                     // 00000001642C: 7E604530
	s_nop 1                                                    // 000000016430: BF800001
	v_mul_f32_e32 v48, 0x42fe0000, v48                         // 000000016434: 0A6060FF 42FE0000
	v_mul_f32_e32 v112, v48, v240                              // 00000001643C: 0AE1E130
	v_mul_f32_e32 v113, v48, v241                              // 000000016440: 0AE3E330
	v_mul_f32_e32 v114, v48, v242                              // 000000016444: 0AE5E530
	v_mul_f32_e32 v115, v48, v243                              // 000000016448: 0AE7E730
	v_mul_f32_e32 v116, v48, v244                              // 00000001644C: 0AE9E930
	v_mul_f32_e32 v117, v48, v245                              // 000000016450: 0AEBEB30
	v_mul_f32_e32 v118, v48, v246                              // 000000016454: 0AEDED30
	v_mul_f32_e32 v119, v48, v247                              // 000000016458: 0AEFEF30
	v_mul_f32_e32 v120, v48, v248                              // 00000001645C: 0AF1F130
	v_mul_f32_e32 v121, v48, v249                              // 000000016460: 0AF3F330
	v_mul_f32_e32 v122, v48, v250                              // 000000016464: 0AF5F530
	v_mul_f32_e32 v123, v48, v251                              // 000000016468: 0AF7F730
	v_mul_f32_e32 v124, v48, v252                              // 00000001646C: 0AF9F930
	v_mul_f32_e32 v125, v48, v253                              // 000000016470: 0AFBFB30
	v_mul_f32_e32 v126, v48, v254                              // 000000016474: 0AFDFD30
	v_mul_f32_e32 v127, v48, v255                              // 000000016478: 0AFFFF30
	v_cvt_i32_f32_e32 v112, v112                               // 00000001647C: 7EE01170
	v_cvt_i32_f32_e32 v113, v113                               // 000000016480: 7EE21171
	v_cvt_i32_f32_e32 v114, v114                               // 000000016484: 7EE41172
	v_cvt_i32_f32_e32 v115, v115                               // 000000016488: 7EE61173
	v_cvt_i32_f32_e32 v116, v116                               // 00000001648C: 7EE81174
	v_cvt_i32_f32_e32 v117, v117                               // 000000016490: 7EEA1175
	v_cvt_i32_f32_e32 v118, v118                               // 000000016494: 7EEC1176
	v_cvt_i32_f32_e32 v119, v119                               // 000000016498: 7EEE1177
	v_cvt_i32_f32_e32 v120, v120                               // 00000001649C: 7EF01178
	v_cvt_i32_f32_e32 v121, v121                               // 0000000164A0: 7EF21179
	v_cvt_i32_f32_e32 v122, v122                               // 0000000164A4: 7EF4117A
	v_cvt_i32_f32_e32 v123, v123                               // 0000000164A8: 7EF6117B
	v_cvt_i32_f32_e32 v124, v124                               // 0000000164AC: 7EF8117C
	v_cvt_i32_f32_e32 v125, v125                               // 0000000164B0: 7EFA117D
	v_cvt_i32_f32_e32 v126, v126                               // 0000000164B4: 7EFC117E
	v_cvt_i32_f32_e32 v127, v127                               // 0000000164B8: 7EFE117F
	v_perm_b32 v112, v113, v112, s53                           // 0000000164BC: D1ED0070 00D6E171
	v_perm_b32 v112, v114, v112, s54                           // 0000000164C4: D1ED0070 00DAE172
	v_perm_b32 v112, v115, v112, s55                           // 0000000164CC: D1ED0070 00DEE173
	v_perm_b32 v113, v117, v116, s53                           // 0000000164D4: D1ED0071 00D6E975
	v_perm_b32 v113, v118, v113, s54                           // 0000000164DC: D1ED0071 00DAE376
	v_perm_b32 v113, v119, v113, s55                           // 0000000164E4: D1ED0071 00DEE377
	v_perm_b32 v114, v121, v120, s53                           // 0000000164EC: D1ED0072 00D6F179
	v_perm_b32 v114, v122, v114, s54                           // 0000000164F4: D1ED0072 00DAE57A
	v_perm_b32 v114, v123, v114, s55                           // 0000000164FC: D1ED0072 00DEE57B
	v_perm_b32 v115, v125, v124, s53                           // 000000016504: D1ED0073 00D6F97D
	v_perm_b32 v115, v126, v115, s54                           // 00000001650C: D1ED0073 00DAE77E
	v_perm_b32 v115, v127, v115, s55                           // 000000016514: D1ED0073 00DEE77F
	ds_write_b32 v10, v112 offset:25088                        // 00000001651C: D81A6200 0000700A
	ds_write_b32 v10, v113 offset:26112                        // 000000016524: D81A6600 0000710A
	ds_write_b32 v10, v114 offset:27136                        // 00000001652C: D81A6A00 0000720A
	ds_write_b32 v10, v115 offset:28160                        // 000000016534: D81A6E00 0000730A
	v_add_f32_e32 v208, v208, v176                             // 00000001653C: 03A161D0
	v_add_f32_e32 v209, v209, v177                             // 000000016540: 03A363D1
	v_add_f32_e32 v210, v210, v178                             // 000000016544: 03A565D2
	v_add_f32_e32 v211, v211, v179                             // 000000016548: 03A767D3
	v_add_f32_e32 v212, v212, v180                             // 00000001654C: 03A969D4
	v_add_f32_e32 v213, v213, v181                             // 000000016550: 03AB6BD5
	v_add_f32_e32 v214, v214, v182                             // 000000016554: 03AD6DD6
	v_add_f32_e32 v215, v215, v183                             // 000000016558: 03AF6FD7
	v_rcp_f32_e32 v44, v48                                     // 00000001655C: 7E584530
	s_waitcnt lgkmcnt(0)                                       // 000000016560: BF8CC07F
	s_barrier                                                  // 000000016564: BF8A0000
	ds_read_b64 v[112:113], v9 offset:25088                    // 000000016568: D8EC6200 70000009
	ds_read_b64 v[114:115], v9 offset:25216                    // 000000016570: D8EC6280 72000009
	ds_read_b64 v[116:117], v9 offset:26112                    // 000000016578: D8EC6600 74000009
	ds_read_b64 v[118:119], v9 offset:26240                    // 000000016580: D8EC6680 76000009
	ds_read_b64 v[120:121], v9 offset:27136                    // 000000016588: D8EC6A00 78000009
	ds_read_b64 v[122:123], v9 offset:27264                    // 000000016590: D8EC6A80 7A000009
	ds_read_b64 v[124:125], v9 offset:28160                    // 000000016598: D8EC6E00 7C000009
	ds_read_b64 v[126:127], v9 offset:28288                    // 0000000165A0: D8EC6E80 7E000009
	v_mov_b32_dpp v64, v42 row_shr:4 row_mask:0xf bank_mask:0xf// 0000000165A8: 7E8002FA FF01142A
	v_mov_b32_dpp v65, v42 row_shl:4 row_mask:0xf bank_mask:0xf// 0000000165B0: 7E8202FA FF01042A
	v_cndmask_b32_e64 v248, v42, v64, s[44:45]                 // 0000000165B8: D10000F8 00B2812A
	v_cndmask_b32_e64 v249, v65, v42, s[44:45]                 // 0000000165C0: D10000F9 00B25541
	v_mov_b32_dpp v64, v248 row_shr:8 row_mask:0xf bank_mask:0xf// 0000000165C8: 7E8002FA FF0118F8
	v_mov_b32_dpp v65, v248 row_shl:8 row_mask:0xf bank_mask:0xf// 0000000165D0: 7E8202FA FF0108F8
	v_mov_b32_dpp v66, v249 row_shr:8 row_mask:0xf bank_mask:0xf// 0000000165D8: 7E8402FA FF0118F9
	v_mov_b32_dpp v67, v249 row_shl:8 row_mask:0xf bank_mask:0xf// 0000000165E0: 7E8602FA FF0108F9
	v_mov_b32_e32 v68, v248                                    // 0000000165E8: 7E8803F8
	v_mov_b32_e32 v69, v249                                    // 0000000165EC: 7E8A03F9
	v_cndmask_b32_e64 v248, v68, v64, s[42:43]                 // 0000000165F0: D10000F8 00AA8144
	v_cndmask_b32_e64 v250, v68, v65, s[78:79]                 // 0000000165F8: D10000FA 013A8344
	v_cndmask_b32_e64 v249, v69, v66, s[42:43]                 // 000000016600: D10000F9 00AA8545
	v_cndmask_b32_e64 v251, v69, v67, s[78:79]                 // 000000016608: D10000FB 013A8745
	v_mov_b32_dpp v64, v57 row_shr:4 row_mask:0xf bank_mask:0xf// 000000016610: 7E8002FA FF011439
	v_mov_b32_dpp v65, v57 row_shl:4 row_mask:0xf bank_mask:0xf// 000000016618: 7E8202FA FF010439
	v_cndmask_b32_e64 v252, v57, v64, s[44:45]                 // 000000016620: D10000FC 00B28139
	v_cndmask_b32_e64 v253, v65, v57, s[44:45]                 // 000000016628: D10000FD 00B27341
	v_mov_b32_dpp v64, v252 row_shr:8 row_mask:0xf bank_mask:0xf// 000000016630: 7E8002FA FF0118FC
	v_mov_b32_dpp v65, v252 row_shl:8 row_mask:0xf bank_mask:0xf// 000000016638: 7E8202FA FF0108FC
	v_mov_b32_dpp v66, v253 row_shr:8 row_mask:0xf bank_mask:0xf// 000000016640: 7E8402FA FF0118FD
	v_mov_b32_dpp v67, v253 row_shl:8 row_mask:0xf bank_mask:0xf// 000000016648: 7E8602FA FF0108FD
	v_mov_b32_e32 v68, v252                                    // 000000016650: 7E8803FC
	v_mov_b32_e32 v69, v253                                    // 000000016654: 7E8A03FD
	v_cndmask_b32_e64 v252, v68, v64, s[42:43]                 // 000000016658: D10000FC 00AA8144
	v_cndmask_b32_e64 v254, v68, v65, s[78:79]                 // 000000016660: D10000FE 013A8344
	v_cndmask_b32_e64 v253, v69, v66, s[42:43]                 // 000000016668: D10000FD 00AA8545
	v_cndmask_b32_e64 v255, v69, v67, s[78:79]                 // 000000016670: D10000FF 013A8745
	v_cvt_f32_i32_e32 v128, v128                               // 000000016678: 7F000B80
	v_cvt_f32_i32_e32 v129, v129                               // 00000001667C: 7F020B81
	v_cvt_f32_i32_e32 v130, v130                               // 000000016680: 7F040B82
	v_cvt_f32_i32_e32 v131, v131                               // 000000016684: 7F060B83
	v_cvt_f32_i32_e32 v132, v132                               // 000000016688: 7F080B84
	v_cvt_f32_i32_e32 v133, v133                               // 00000001668C: 7F0A0B85
	v_cvt_f32_i32_e32 v134, v134                               // 000000016690: 7F0C0B86
	v_cvt_f32_i32_e32 v135, v135                               // 000000016694: 7F0E0B87
	v_cvt_f32_i32_e32 v136, v136                               // 000000016698: 7F100B88
	v_cvt_f32_i32_e32 v137, v137                               // 00000001669C: 7F120B89
	v_cvt_f32_i32_e32 v138, v138                               // 0000000166A0: 7F140B8A
	v_cvt_f32_i32_e32 v139, v139                               // 0000000166A4: 7F160B8B
	v_cvt_f32_i32_e32 v140, v140                               // 0000000166A8: 7F180B8C
	v_cvt_f32_i32_e32 v141, v141                               // 0000000166AC: 7F1A0B8D
	v_cvt_f32_i32_e32 v142, v142                               // 0000000166B0: 7F1C0B8E
	v_cvt_f32_i32_e32 v143, v143                               // 0000000166B4: 7F1E0B8F
	v_mul_f32_e32 v128, v19, v128                              // 0000000166B8: 0B010113
	v_mul_f32_e32 v129, v19, v129                              // 0000000166BC: 0B030313
	v_mul_f32_e32 v130, v19, v130                              // 0000000166C0: 0B050513
	v_mul_f32_e32 v131, v19, v131                              // 0000000166C4: 0B070713
	v_mul_f32_e32 v132, v19, v132                              // 0000000166C8: 0B090913
	v_mul_f32_e32 v133, v19, v133                              // 0000000166CC: 0B0B0B13
	v_mul_f32_e32 v134, v19, v134                              // 0000000166D0: 0B0D0D13
	v_mul_f32_e32 v135, v19, v135                              // 0000000166D4: 0B0F0F13
	v_mul_f32_e32 v136, v19, v136                              // 0000000166D8: 0B111113
	v_mul_f32_e32 v137, v19, v137                              // 0000000166DC: 0B131313
	v_mul_f32_e32 v138, v19, v138                              // 0000000166E0: 0B151513
	v_mul_f32_e32 v139, v19, v139                              // 0000000166E4: 0B171713
	v_mul_f32_e32 v140, v19, v140                              // 0000000166E8: 0B191913
	v_mul_f32_e32 v141, v19, v141                              // 0000000166EC: 0B1B1B13
	v_mul_f32_e32 v142, v19, v142                              // 0000000166F0: 0B1D1D13
	v_mul_f32_e32 v143, v19, v143                              // 0000000166F4: 0B1F1F13
	v_mul_f32_dpp v128, v248, v128 quad_perm:[0,0,0,0] row_mask:0xf bank_mask:0xf// 0000000166F8: 0B0100FA FF0000F8
	v_mul_f32_dpp v129, v248, v129 quad_perm:[1,1,1,1] row_mask:0xf bank_mask:0xf// 000000016700: 0B0302FA FF0055F8
	v_mul_f32_dpp v130, v248, v130 quad_perm:[2,2,2,2] row_mask:0xf bank_mask:0xf// 000000016708: 0B0504FA FF00AAF8
	v_mul_f32_dpp v131, v248, v131 quad_perm:[3,3,3,3] row_mask:0xf bank_mask:0xf// 000000016710: 0B0706FA FF00FFF8
	v_mul_f32_dpp v132, v249, v132 quad_perm:[0,0,0,0] row_mask:0xf bank_mask:0xf// 000000016718: 0B0908FA FF0000F9
	v_mul_f32_dpp v133, v249, v133 quad_perm:[1,1,1,1] row_mask:0xf bank_mask:0xf// 000000016720: 0B0B0AFA FF0055F9
	v_mul_f32_dpp v134, v249, v134 quad_perm:[2,2,2,2] row_mask:0xf bank_mask:0xf// 000000016728: 0B0D0CFA FF00AAF9
	v_mul_f32_dpp v135, v249, v135 quad_perm:[3,3,3,3] row_mask:0xf bank_mask:0xf// 000000016730: 0B0F0EFA FF00FFF9
	v_mul_f32_dpp v136, v250, v136 quad_perm:[0,0,0,0] row_mask:0xf bank_mask:0xf// 000000016738: 0B1110FA FF0000FA
	v_mul_f32_dpp v137, v250, v137 quad_perm:[1,1,1,1] row_mask:0xf bank_mask:0xf// 000000016740: 0B1312FA FF0055FA
	v_mul_f32_dpp v138, v250, v138 quad_perm:[2,2,2,2] row_mask:0xf bank_mask:0xf// 000000016748: 0B1514FA FF00AAFA
	v_mul_f32_dpp v139, v250, v139 quad_perm:[3,3,3,3] row_mask:0xf bank_mask:0xf// 000000016750: 0B1716FA FF00FFFA
	v_mul_f32_dpp v140, v251, v140 quad_perm:[0,0,0,0] row_mask:0xf bank_mask:0xf// 000000016758: 0B1918FA FF0000FB
	v_mul_f32_dpp v141, v251, v141 quad_perm:[1,1,1,1] row_mask:0xf bank_mask:0xf// 000000016760: 0B1B1AFA FF0055FB
	v_mul_f32_dpp v142, v251, v142 quad_perm:[2,2,2,2] row_mask:0xf bank_mask:0xf// 000000016768: 0B1D1CFA FF00AAFB
	v_mul_f32_dpp v143, v251, v143 quad_perm:[3,3,3,3] row_mask:0xf bank_mask:0xf// 000000016770: 0B1F1EFA FF00FFFB
	s_cmp_le_i32 s90, s89                                      // 000000016778: BF05595A
	s_cbranch_scc1 label_51D1                                  // 00000001677C: BF850071
	v_mov_b32_e32 v66, 0xff800000                              // 000000016780: 7E8402FF FF800000
	s_mov_b32 s60, s90                                         // 000000016788: BEBC005A
	s_add_u32 s61, s89, 0xff                                   // 00000001678C: 803DFF59 000000FF
	v_mov_b32_e32 v64, s61                                     // 000000016794: 7E80023D
	v_lshrrev_b32_e32 v240, 4, v0                              // 000000016798: 21E00084
	v_mul_i32_i24_e32 v240, 4, v240                            // 00000001679C: 0DE1E084
	v_add_u32_e32 v240, s60, v240                              // 0000000167A0: 69E1E03C
	s_mov_b32 s61, 1                                           // 0000000167A4: BEBD0081
	s_mul_i32 s60, 16, s7                                      // 0000000167A8: 923C0790
	v_sub_u32_e64 v240, v240, s61                              // 0000000167AC: D13500F0 00007BF0
	v_add_u32_e32 v240, s60, v240                              // 0000000167B4: 69E1E03C
	v_add_u32_e32 v241, 1, v240                                // 0000000167B8: 69E3E081
	v_add_u32_e32 v242, 2, v240                                // 0000000167BC: 69E5E082
	v_add_u32_e32 v243, 3, v240                                // 0000000167C0: 69E7E083
	v_cmp_le_u32_e64 s[40:41], v240, v64                       // 0000000167C4: D0CB0028 000281F0
	v_add_u32_e32 v240, 64, v240                               // 0000000167CC: 69E1E0C0
	s_nop 0                                                    // 0000000167D0: BF800000
	v_cndmask_b32_e64 v128, v66, v128, s[40:41]                // 0000000167D4: D1000080 00A30142
	v_cmp_le_u32_e64 s[40:41], v241, v64                       // 0000000167DC: D0CB0028 000281F1
	v_add_u32_e32 v241, 64, v241                               // 0000000167E4: 69E3E2C0
	s_nop 0                                                    // 0000000167E8: BF800000
	v_cndmask_b32_e64 v129, v66, v129, s[40:41]                // 0000000167EC: D1000081 00A30342
	v_cmp_le_u32_e64 s[40:41], v242, v64                       // 0000000167F4: D0CB0028 000281F2
	v_add_u32_e32 v242, 64, v242                               // 0000000167FC: 69E5E4C0
	s_nop 0                                                    // 000000016800: BF800000
	v_cndmask_b32_e64 v130, v66, v130, s[40:41]                // 000000016804: D1000082 00A30542
	v_cmp_le_u32_e64 s[40:41], v243, v64                       // 00000001680C: D0CB0028 000281F3
	v_add_u32_e32 v243, 64, v243                               // 000000016814: 69E7E6C0
	s_nop 0                                                    // 000000016818: BF800000
	v_cndmask_b32_e64 v131, v66, v131, s[40:41]                // 00000001681C: D1000083 00A30742
	v_cmp_le_u32_e64 s[40:41], v240, v64                       // 000000016824: D0CB0028 000281F0
	v_add_u32_e32 v240, 64, v240                               // 00000001682C: 69E1E0C0
	s_nop 0                                                    // 000000016830: BF800000
	v_cndmask_b32_e64 v132, v66, v132, s[40:41]                // 000000016834: D1000084 00A30942
	v_cmp_le_u32_e64 s[40:41], v241, v64                       // 00000001683C: D0CB0028 000281F1
	v_add_u32_e32 v241, 64, v241                               // 000000016844: 69E3E2C0
	s_nop 0                                                    // 000000016848: BF800000
	v_cndmask_b32_e64 v133, v66, v133, s[40:41]                // 00000001684C: D1000085 00A30B42
	v_cmp_le_u32_e64 s[40:41], v242, v64                       // 000000016854: D0CB0028 000281F2
	v_add_u32_e32 v242, 64, v242                               // 00000001685C: 69E5E4C0
	s_nop 0                                                    // 000000016860: BF800000
	v_cndmask_b32_e64 v134, v66, v134, s[40:41]                // 000000016864: D1000086 00A30D42
	v_cmp_le_u32_e64 s[40:41], v243, v64                       // 00000001686C: D0CB0028 000281F3
	v_add_u32_e32 v243, 64, v243                               // 000000016874: 69E7E6C0
	s_nop 0                                                    // 000000016878: BF800000
	v_cndmask_b32_e64 v135, v66, v135, s[40:41]                // 00000001687C: D1000087 00A30F42
	v_cmp_le_u32_e64 s[40:41], v240, v64                       // 000000016884: D0CB0028 000281F0
	v_add_u32_e32 v240, 64, v240                               // 00000001688C: 69E1E0C0
	s_nop 0                                                    // 000000016890: BF800000
	v_cndmask_b32_e64 v136, v66, v136, s[40:41]                // 000000016894: D1000088 00A31142
	v_cmp_le_u32_e64 s[40:41], v241, v64                       // 00000001689C: D0CB0028 000281F1
	v_add_u32_e32 v241, 64, v241                               // 0000000168A4: 69E3E2C0
	s_nop 0                                                    // 0000000168A8: BF800000
	v_cndmask_b32_e64 v137, v66, v137, s[40:41]                // 0000000168AC: D1000089 00A31342
	v_cmp_le_u32_e64 s[40:41], v242, v64                       // 0000000168B4: D0CB0028 000281F2
	v_add_u32_e32 v242, 64, v242                               // 0000000168BC: 69E5E4C0
	s_nop 0                                                    // 0000000168C0: BF800000
	v_cndmask_b32_e64 v138, v66, v138, s[40:41]                // 0000000168C4: D100008A 00A31542
	v_cmp_le_u32_e64 s[40:41], v243, v64                       // 0000000168CC: D0CB0028 000281F3
	v_add_u32_e32 v243, 64, v243                               // 0000000168D4: 69E7E6C0
	s_nop 0                                                    // 0000000168D8: BF800000
	v_cndmask_b32_e64 v139, v66, v139, s[40:41]                // 0000000168DC: D100008B 00A31742
	v_cmp_le_u32_e64 s[40:41], v240, v64                       // 0000000168E4: D0CB0028 000281F0
	v_add_u32_e32 v240, 64, v240                               // 0000000168EC: 69E1E0C0
	s_nop 0                                                    // 0000000168F0: BF800000
	v_cndmask_b32_e64 v140, v66, v140, s[40:41]                // 0000000168F4: D100008C 00A31942
	v_cmp_le_u32_e64 s[40:41], v241, v64                       // 0000000168FC: D0CB0028 000281F1
	v_add_u32_e32 v241, 64, v241                               // 000000016904: 69E3E2C0
	s_nop 0                                                    // 000000016908: BF800000
	v_cndmask_b32_e64 v141, v66, v141, s[40:41]                // 00000001690C: D100008D 00A31B42
	v_cmp_le_u32_e64 s[40:41], v242, v64                       // 000000016914: D0CB0028 000281F2
	v_add_u32_e32 v242, 64, v242                               // 00000001691C: 69E5E4C0
	s_nop 0                                                    // 000000016920: BF800000
	v_cndmask_b32_e64 v142, v66, v142, s[40:41]                // 000000016924: D100008E 00A31D42
	v_cmp_le_u32_e64 s[40:41], v243, v64                       // 00000001692C: D0CB0028 000281F3
	v_add_u32_e32 v243, 64, v243                               // 000000016934: 69E7E6C0
	s_nop 0                                                    // 000000016938: BF800000
	v_cndmask_b32_e64 v143, v66, v143, s[40:41]                // 00000001693C: D100008F 00A31F42

0000000000016944 <label_51D1>:
	v_mov_b32_e32 v48, v128                                    // 000000016944: 7E600380
	v_max3_f32 v48, v128, v129, v48                            // 000000016948: D1D30030 04C30380
	v_max3_f32 v48, v130, v131, v48                            // 000000016950: D1D30030 04C30782
	v_max3_f32 v48, v132, v133, v48                            // 000000016958: D1D30030 04C30B84
	v_max3_f32 v48, v134, v135, v48                            // 000000016960: D1D30030 04C30F86
	v_max3_f32 v48, v136, v137, v48                            // 000000016968: D1D30030 04C31388
	v_max3_f32 v48, v138, v139, v48                            // 000000016970: D1D30030 04C3178A
	v_max3_f32 v48, v140, v141, v48                            // 000000016978: D1D30030 04C31B8C
	v_max3_f32 v48, v142, v143, v48                            // 000000016980: D1D30030 04C31F8E
	ds_write_b32 v8, v48 offset:16896                          // 000000016988: D81A4200 00003008
	v_mul_f32_e32 v216, v50, v216                              // 000000016990: 0BB1B132
	v_mul_f32_e32 v217, v50, v217                              // 000000016994: 0BB3B332
	v_mul_f32_e32 v218, v50, v218                              // 000000016998: 0BB5B532
	v_mul_f32_e32 v219, v50, v219                              // 00000001699C: 0BB7B732
	v_mul_f32_e32 v220, v50, v220                              // 0000000169A0: 0BB9B932
	v_mul_f32_e32 v221, v50, v221                              // 0000000169A4: 0BBBBB32
	v_mul_f32_e32 v222, v50, v222                              // 0000000169A8: 0BBDBD32
	v_mul_f32_e32 v223, v50, v223                              // 0000000169AC: 0BBFBF32
	s_waitcnt lgkmcnt(0)                                       // 0000000169B0: BF8CC07F
	s_barrier                                                  // 0000000169B4: BF8A0000
	ds_read_b32 v64, v7 offset:16896                           // 0000000169B8: D86C4200 40000007
	ds_read_b32 v65, v7 offset:16960                           // 0000000169C0: D86C4240 41000007
	ds_read_b32 v66, v7 offset:17024                           // 0000000169C8: D86C4280 42000007
	ds_read_b32 v67, v7 offset:17088                           // 0000000169D0: D86C42C0 43000007
	ds_read_b32 v68, v7 offset:17152                           // 0000000169D8: D86C4300 44000007
	ds_read_b32 v69, v7 offset:17216                           // 0000000169E0: D86C4340 45000007
	ds_read_b32 v70, v7 offset:17280                           // 0000000169E8: D86C4380 46000007
	ds_read_b32 v71, v7 offset:17344                           // 0000000169F0: D86C43C0 47000007
	ds_read_b32 v72, v7 offset:17408                           // 0000000169F8: D86C4400 48000007
	ds_read_b32 v73, v7 offset:17472                           // 000000016A00: D86C4440 49000007
	ds_read_b32 v74, v7 offset:17536                           // 000000016A08: D86C4480 4A000007
	ds_read_b32 v75, v7 offset:17600                           // 000000016A10: D86C44C0 4B000007
	ds_read_b32 v76, v7 offset:17664                           // 000000016A18: D86C4500 4C000007
	ds_read_b32 v77, v7 offset:17728                           // 000000016A20: D86C4540 4D000007
	ds_read_b32 v78, v7 offset:17792                           // 000000016A28: D86C4580 4E000007
	ds_read_b32 v79, v7 offset:17856                           // 000000016A30: D86C45C0 4F000007
	v_cvt_f32_i32_e32 v184, v184                               // 000000016A38: 7F700BB8
	v_cvt_f32_i32_e32 v185, v185                               // 000000016A3C: 7F720BB9
	v_cvt_f32_i32_e32 v186, v186                               // 000000016A40: 7F740BBA
	v_cvt_f32_i32_e32 v187, v187                               // 000000016A44: 7F760BBB
	v_cvt_f32_i32_e32 v188, v188                               // 000000016A48: 7F780BBC
	v_cvt_f32_i32_e32 v189, v189                               // 000000016A4C: 7F7A0BBD
	v_cvt_f32_i32_e32 v190, v190                               // 000000016A50: 7F7C0BBE
	v_cvt_f32_i32_e32 v191, v191                               // 000000016A54: 7F7E0BBF
	v_mul_f32_e32 v184, v45, v184                              // 000000016A58: 0B71712D
	v_mul_f32_e32 v185, v45, v185                              // 000000016A5C: 0B73732D
	v_mul_f32_e32 v186, v45, v186                              // 000000016A60: 0B75752D
	v_mul_f32_e32 v187, v45, v187                              // 000000016A64: 0B77772D
	v_mul_f32_e32 v188, v45, v188                              // 000000016A68: 0B79792D
	v_mul_f32_e32 v189, v45, v189                              // 000000016A6C: 0B7B7B2D
	v_mul_f32_e32 v190, v45, v190                              // 000000016A70: 0B7D7D2D
	v_mul_f32_e32 v191, v45, v191                              // 000000016A74: 0B7F7F2D
	s_waitcnt lgkmcnt(0)                                       // 000000016A78: BF8CC07F
	v_max3_f32 v48, v64, v65, v48                              // 000000016A7C: D1D30030 04C28340
	v_max3_f32 v48, v66, v67, v48                              // 000000016A84: D1D30030 04C28742
	v_max3_f32 v48, v68, v69, v48                              // 000000016A8C: D1D30030 04C28B44
	v_max3_f32 v48, v70, v71, v48                              // 000000016A94: D1D30030 04C28F46
	v_max3_f32 v48, v72, v73, v48                              // 000000016A9C: D1D30030 04C29348
	v_max3_f32 v48, v74, v75, v48                              // 000000016AA4: D1D30030 04C2974A
	v_max3_f32 v48, v76, v77, v48                              // 000000016AAC: D1D30030 04C29B4C
	v_max3_f32 v48, v78, v79, v48                              // 000000016AB4: D1D30030 04C29F4E
	v_mov_b32_e32 v64, 0xff800000                              // 000000016ABC: 7E8002FF FF800000
	v_cmp_eq_u32_e64 s[40:41], v64, v12                        // 000000016AC4: D0CA0028 00021940
	s_nop 1                                                    // 000000016ACC: BF800001
	v_max_f32_e32 v15, v48, v12                                // 000000016AD0: 161E1930
	v_mul_f32_e32 v53, s64, v15                                // 000000016AD4: 0A6A1E40
	v_fma_f32 v128, v128, s64, -v53                            // 000000016AD8: D1CB0080 84D48180
	v_fma_f32 v129, v129, s64, -v53                            // 000000016AE0: D1CB0081 84D48181
	v_fma_f32 v130, v130, s64, -v53                            // 000000016AE8: D1CB0082 84D48182
	v_fma_f32 v131, v131, s64, -v53                            // 000000016AF0: D1CB0083 84D48183
	v_fma_f32 v132, v132, s64, -v53                            // 000000016AF8: D1CB0084 84D48184
	v_fma_f32 v133, v133, s64, -v53                            // 000000016B00: D1CB0085 84D48185
	v_fma_f32 v134, v134, s64, -v53                            // 000000016B08: D1CB0086 84D48186
	v_fma_f32 v135, v135, s64, -v53                            // 000000016B10: D1CB0087 84D48187
	v_fma_f32 v136, v136, s64, -v53                            // 000000016B18: D1CB0088 84D48188
	v_fma_f32 v137, v137, s64, -v53                            // 000000016B20: D1CB0089 84D48189
	v_fma_f32 v138, v138, s64, -v53                            // 000000016B28: D1CB008A 84D4818A
	v_fma_f32 v139, v139, s64, -v53                            // 000000016B30: D1CB008B 84D4818B
	v_fma_f32 v140, v140, s64, -v53                            // 000000016B38: D1CB008C 84D4818C
	v_fma_f32 v141, v141, s64, -v53                            // 000000016B40: D1CB008D 84D4818D
	v_fma_f32 v142, v142, s64, -v53                            // 000000016B48: D1CB008E 84D4818E
	v_fma_f32 v143, v143, s64, -v53                            // 000000016B50: D1CB008F 84D4818F
	v_exp_f32_e32 v128, v128                                   // 000000016B58: 7F004180
	v_exp_f32_e32 v129, v129                                   // 000000016B5C: 7F024181
	v_exp_f32_e32 v130, v130                                   // 000000016B60: 7F044182
	v_exp_f32_e32 v131, v131                                   // 000000016B64: 7F064183
	v_exp_f32_e32 v132, v132                                   // 000000016B68: 7F084184
	v_exp_f32_e32 v133, v133                                   // 000000016B6C: 7F0A4185
	v_exp_f32_e32 v134, v134                                   // 000000016B70: 7F0C4186
	v_exp_f32_e32 v135, v135                                   // 000000016B74: 7F0E4187
	v_exp_f32_e32 v136, v136                                   // 000000016B78: 7F104188
	v_exp_f32_e32 v137, v137                                   // 000000016B7C: 7F124189
	v_exp_f32_e32 v138, v138                                   // 000000016B80: 7F14418A
	v_exp_f32_e32 v139, v139                                   // 000000016B84: 7F16418B
	v_exp_f32_e32 v140, v140                                   // 000000016B88: 7F18418C
	v_exp_f32_e32 v141, v141                                   // 000000016B8C: 7F1A418D
	v_exp_f32_e32 v142, v142                                   // 000000016B90: 7F1C418E
	v_exp_f32_e32 v143, v143                                   // 000000016B94: 7F1E418F
	v_mul_f32_dpp v240, v252, v128 quad_perm:[0,0,0,0] row_mask:0xf bank_mask:0xf// 000000016B98: 0BE100FA FF0000FC
	v_mul_f32_dpp v241, v252, v129 quad_perm:[1,1,1,1] row_mask:0xf bank_mask:0xf// 000000016BA0: 0BE302FA FF0055FC
	v_mul_f32_dpp v242, v252, v130 quad_perm:[2,2,2,2] row_mask:0xf bank_mask:0xf// 000000016BA8: 0BE504FA FF00AAFC
	v_mul_f32_dpp v243, v252, v131 quad_perm:[3,3,3,3] row_mask:0xf bank_mask:0xf// 000000016BB0: 0BE706FA FF00FFFC
	v_mul_f32_dpp v244, v253, v132 quad_perm:[0,0,0,0] row_mask:0xf bank_mask:0xf// 000000016BB8: 0BE908FA FF0000FD
	v_mul_f32_dpp v245, v253, v133 quad_perm:[1,1,1,1] row_mask:0xf bank_mask:0xf// 000000016BC0: 0BEB0AFA FF0055FD
	v_mul_f32_dpp v246, v253, v134 quad_perm:[2,2,2,2] row_mask:0xf bank_mask:0xf// 000000016BC8: 0BED0CFA FF00AAFD
	v_mul_f32_dpp v247, v253, v135 quad_perm:[3,3,3,3] row_mask:0xf bank_mask:0xf// 000000016BD0: 0BEF0EFA FF00FFFD
	v_mul_f32_dpp v248, v254, v136 quad_perm:[0,0,0,0] row_mask:0xf bank_mask:0xf// 000000016BD8: 0BF110FA FF0000FE
	v_mul_f32_dpp v249, v254, v137 quad_perm:[1,1,1,1] row_mask:0xf bank_mask:0xf// 000000016BE0: 0BF312FA FF0055FE
	v_mul_f32_dpp v250, v254, v138 quad_perm:[2,2,2,2] row_mask:0xf bank_mask:0xf// 000000016BE8: 0BF514FA FF00AAFE
	v_mul_f32_dpp v251, v254, v139 quad_perm:[3,3,3,3] row_mask:0xf bank_mask:0xf// 000000016BF0: 0BF716FA FF00FFFE
	v_mul_f32_dpp v252, v255, v140 quad_perm:[0,0,0,0] row_mask:0xf bank_mask:0xf// 000000016BF8: 0BF918FA FF0000FF
	v_mul_f32_dpp v253, v255, v141 quad_perm:[1,1,1,1] row_mask:0xf bank_mask:0xf// 000000016C00: 0BFB1AFA FF0055FF
	v_mul_f32_dpp v254, v255, v142 quad_perm:[2,2,2,2] row_mask:0xf bank_mask:0xf// 000000016C08: 0BFD1CFA FF00AAFF
	v_mul_f32_dpp v255, v255, v143 quad_perm:[3,3,3,3] row_mask:0xf bank_mask:0xf// 000000016C10: 0BFF1EFA FF00FFFF
	v_mov_b32_e32 v48, 0x358637bd                              // 000000016C18: 7E6002FF 358637BD
	v_max3_f32 v48, |v240|, |v241|, v48                        // 000000016C20: D1D30330 04C3E3F0
	v_max3_f32 v48, |v242|, |v243|, v48                        // 000000016C28: D1D30330 04C3E7F2
	v_max3_f32 v48, |v244|, |v245|, v48                        // 000000016C30: D1D30330 04C3EBF4
	v_max3_f32 v48, |v246|, |v247|, v48                        // 000000016C38: D1D30330 04C3EFF6
	v_max3_f32 v48, |v248|, |v249|, v48                        // 000000016C40: D1D30330 04C3F3F8
	v_max3_f32 v48, |v250|, |v251|, v48                        // 000000016C48: D1D30330 04C3F7FA
	v_max3_f32 v48, |v252|, |v253|, v48                        // 000000016C50: D1D30330 04C3FBFC
	v_max3_f32 v48, |v254|, |v255|, v48                        // 000000016C58: D1D30330 04C3FFFE
	ds_write_b32 v8, v48 offset:20992                          // 000000016C60: D81A5200 00003008
	v_sub_f32_e32 v50, v12, v15                                // 000000016C68: 04641F0C
	v_cndmask_b32_e64 v50, v50, 0, s[40:41]                    // 000000016C6C: D1000032 00A10132
	v_mov_b32_e32 v12, v15                                     // 000000016C74: 7E18030F
	v_mul_f32_e32 v50, s64, v50                                // 000000016C78: 0A646440
	v_exp_f32_e32 v50, v50                                     // 000000016C7C: 7E644132
	s_waitcnt lgkmcnt(0)                                       // 000000016C80: BF8CC07F
	s_barrier                                                  // 000000016C84: BF8A0000
	ds_read_b32 v64, v7 offset:20992                           // 000000016C88: D86C5200 40000007
	ds_read_b32 v65, v7 offset:21056                           // 000000016C90: D86C5240 41000007
	ds_read_b32 v66, v7 offset:21120                           // 000000016C98: D86C5280 42000007
	ds_read_b32 v67, v7 offset:21184                           // 000000016CA0: D86C52C0 43000007
	ds_read_b32 v68, v7 offset:21248                           // 000000016CA8: D86C5300 44000007
	ds_read_b32 v69, v7 offset:21312                           // 000000016CB0: D86C5340 45000007
	ds_read_b32 v70, v7 offset:21376                           // 000000016CB8: D86C5380 46000007
	ds_read_b32 v71, v7 offset:21440                           // 000000016CC0: D86C53C0 47000007
	ds_read_b32 v72, v7 offset:21504                           // 000000016CC8: D86C5400 48000007
	ds_read_b32 v73, v7 offset:21568                           // 000000016CD0: D86C5440 49000007
	ds_read_b32 v74, v7 offset:21632                           // 000000016CD8: D86C5480 4A000007
	ds_read_b32 v75, v7 offset:21696                           // 000000016CE0: D86C54C0 4B000007
	ds_read_b32 v76, v7 offset:21760                           // 000000016CE8: D86C5500 4C000007
	ds_read_b32 v77, v7 offset:21824                           // 000000016CF0: D86C5540 4D000007
	ds_read_b32 v78, v7 offset:21888                           // 000000016CF8: D86C5580 4E000007
	ds_read_b32 v79, v7 offset:21952                           // 000000016D00: D86C55C0 4F000007
	v_mul_f32_e32 v39, v50, v39                                // 000000016D08: 0A4E4F32
	v_mov_b32_e32 v15, v128                                    // 000000016D0C: 7E1E0380
	v_add_f32_e32 v15, v129, v15                               // 000000016D10: 021E1F81
	v_add_f32_e32 v15, v130, v15                               // 000000016D14: 021E1F82
	v_add_f32_e32 v15, v131, v15                               // 000000016D18: 021E1F83
	v_add_f32_e32 v15, v132, v15                               // 000000016D1C: 021E1F84
	v_add_f32_e32 v15, v133, v15                               // 000000016D20: 021E1F85
	v_add_f32_e32 v15, v134, v15                               // 000000016D24: 021E1F86
	v_add_f32_e32 v15, v135, v15                               // 000000016D28: 021E1F87
	v_add_f32_e32 v15, v136, v15                               // 000000016D2C: 021E1F88
	v_add_f32_e32 v15, v137, v15                               // 000000016D30: 021E1F89
	v_add_f32_e32 v15, v138, v15                               // 000000016D34: 021E1F8A
	v_add_f32_e32 v15, v139, v15                               // 000000016D38: 021E1F8B
	v_add_f32_e32 v15, v140, v15                               // 000000016D3C: 021E1F8C
	v_add_f32_e32 v15, v141, v15                               // 000000016D40: 021E1F8D
	v_add_f32_e32 v15, v142, v15                               // 000000016D44: 021E1F8E
	v_add_f32_e32 v15, v143, v15                               // 000000016D48: 021E1F8F
	v_add_f32_e32 v39, v15, v39                                // 000000016D4C: 024E4F0F
	s_waitcnt lgkmcnt(0)                                       // 000000016D50: BF8CC07F
	v_max3_f32 v48, |v64|, |v65|, v48                          // 000000016D54: D1D30330 04C28340
	v_max3_f32 v48, |v66|, |v67|, v48                          // 000000016D5C: D1D30330 04C28742
	v_max3_f32 v48, |v68|, |v69|, v48                          // 000000016D64: D1D30330 04C28B44
	v_max3_f32 v48, |v70|, |v71|, v48                          // 000000016D6C: D1D30330 04C28F46
	v_max3_f32 v48, |v72|, |v73|, v48                          // 000000016D74: D1D30330 04C29348
	v_max3_f32 v48, |v74|, |v75|, v48                          // 000000016D7C: D1D30330 04C2974A
	v_max3_f32 v48, |v76|, |v77|, v48                          // 000000016D84: D1D30330 04C29B4C
	v_max3_f32 v48, |v78|, |v79|, v48                          // 000000016D8C: D1D30330 04C29F4E
	s_nop 2                                                    // 000000016D94: BF800002
	v_rcp_f32_e32 v48, v48                                     // 000000016D98: 7E604530
	s_nop 1                                                    // 000000016D9C: BF800001
	v_mul_f32_e32 v48, 0x42fe0000, v48                         // 000000016DA0: 0A6060FF 42FE0000
	v_mul_f32_e32 v128, v48, v240                              // 000000016DA8: 0B01E130
	v_mul_f32_e32 v129, v48, v241                              // 000000016DAC: 0B03E330
	v_mul_f32_e32 v130, v48, v242                              // 000000016DB0: 0B05E530
	v_mul_f32_e32 v131, v48, v243                              // 000000016DB4: 0B07E730
	v_mul_f32_e32 v132, v48, v244                              // 000000016DB8: 0B09E930
	v_mul_f32_e32 v133, v48, v245                              // 000000016DBC: 0B0BEB30
	v_mul_f32_e32 v134, v48, v246                              // 000000016DC0: 0B0DED30
	v_mul_f32_e32 v135, v48, v247                              // 000000016DC4: 0B0FEF30
	v_mul_f32_e32 v136, v48, v248                              // 000000016DC8: 0B11F130
	v_mul_f32_e32 v137, v48, v249                              // 000000016DCC: 0B13F330
	v_mul_f32_e32 v138, v48, v250                              // 000000016DD0: 0B15F530
	v_mul_f32_e32 v139, v48, v251                              // 000000016DD4: 0B17F730
	v_mul_f32_e32 v140, v48, v252                              // 000000016DD8: 0B19F930
	v_mul_f32_e32 v141, v48, v253                              // 000000016DDC: 0B1BFB30
	v_mul_f32_e32 v142, v48, v254                              // 000000016DE0: 0B1DFD30
	v_mul_f32_e32 v143, v48, v255                              // 000000016DE4: 0B1FFF30
	v_cvt_i32_f32_e32 v128, v128                               // 000000016DE8: 7F001180
	v_cvt_i32_f32_e32 v129, v129                               // 000000016DEC: 7F021181
	v_cvt_i32_f32_e32 v130, v130                               // 000000016DF0: 7F041182
	v_cvt_i32_f32_e32 v131, v131                               // 000000016DF4: 7F061183
	v_cvt_i32_f32_e32 v132, v132                               // 000000016DF8: 7F081184
	v_cvt_i32_f32_e32 v133, v133                               // 000000016DFC: 7F0A1185
	v_cvt_i32_f32_e32 v134, v134                               // 000000016E00: 7F0C1186
	v_cvt_i32_f32_e32 v135, v135                               // 000000016E04: 7F0E1187
	v_cvt_i32_f32_e32 v136, v136                               // 000000016E08: 7F101188
	v_cvt_i32_f32_e32 v137, v137                               // 000000016E0C: 7F121189
	v_cvt_i32_f32_e32 v138, v138                               // 000000016E10: 7F14118A
	v_cvt_i32_f32_e32 v139, v139                               // 000000016E14: 7F16118B
	v_cvt_i32_f32_e32 v140, v140                               // 000000016E18: 7F18118C
	v_cvt_i32_f32_e32 v141, v141                               // 000000016E1C: 7F1A118D
	v_cvt_i32_f32_e32 v142, v142                               // 000000016E20: 7F1C118E
	v_cvt_i32_f32_e32 v143, v143                               // 000000016E24: 7F1E118F
	v_perm_b32 v128, v129, v128, s53                           // 000000016E28: D1ED0080 00D70181
	v_perm_b32 v128, v130, v128, s54                           // 000000016E30: D1ED0080 00DB0182
	v_perm_b32 v128, v131, v128, s55                           // 000000016E38: D1ED0080 00DF0183
	v_perm_b32 v129, v133, v132, s53                           // 000000016E40: D1ED0081 00D70985
	v_perm_b32 v129, v134, v129, s54                           // 000000016E48: D1ED0081 00DB0386
	v_perm_b32 v129, v135, v129, s55                           // 000000016E50: D1ED0081 00DF0387
	v_perm_b32 v130, v137, v136, s53                           // 000000016E58: D1ED0082 00D71189
	v_perm_b32 v130, v138, v130, s54                           // 000000016E60: D1ED0082 00DB058A
	v_perm_b32 v130, v139, v130, s55                           // 000000016E68: D1ED0082 00DF058B
	v_perm_b32 v131, v141, v140, s53                           // 000000016E70: D1ED0083 00D7198D
	v_perm_b32 v131, v142, v131, s54                           // 000000016E78: D1ED0083 00DB078E
	v_perm_b32 v131, v143, v131, s55                           // 000000016E80: D1ED0083 00DF078F
	ds_write_b32 v10, v128 offset:29184                        // 000000016E88: D81A7200 0000800A
	ds_write_b32 v10, v129 offset:30208                        // 000000016E90: D81A7600 0000810A
	ds_write_b32 v10, v130 offset:31232                        // 000000016E98: D81A7A00 0000820A
	ds_write_b32 v10, v131 offset:32256                        // 000000016EA0: D81A7E00 0000830A
	v_add_f32_e32 v216, v216, v184                             // 000000016EA8: 03B171D8
	v_add_f32_e32 v217, v217, v185                             // 000000016EAC: 03B373D9
	v_add_f32_e32 v218, v218, v186                             // 000000016EB0: 03B575DA
	v_add_f32_e32 v219, v219, v187                             // 000000016EB4: 03B777DB
	v_add_f32_e32 v220, v220, v188                             // 000000016EB8: 03B979DC
	v_add_f32_e32 v221, v221, v189                             // 000000016EBC: 03BB7BDD
	v_add_f32_e32 v222, v222, v190                             // 000000016EC0: 03BD7DDE
	v_add_f32_e32 v223, v223, v191                             // 000000016EC4: 03BF7FDF
	v_rcp_f32_e32 v45, v48                                     // 000000016EC8: 7E5A4530
	s_waitcnt lgkmcnt(0)                                       // 000000016ECC: BF8CC07F
	s_barrier                                                  // 000000016ED0: BF8A0000
	ds_read_b64 v[128:129], v9 offset:29184                    // 000000016ED4: D8EC7200 80000009
	ds_read_b64 v[130:131], v9 offset:29312                    // 000000016EDC: D8EC7280 82000009
	ds_read_b64 v[132:133], v9 offset:30208                    // 000000016EE4: D8EC7600 84000009
	ds_read_b64 v[134:135], v9 offset:30336                    // 000000016EEC: D8EC7680 86000009
	ds_read_b64 v[136:137], v9 offset:31232                    // 000000016EF4: D8EC7A00 88000009
	ds_read_b64 v[138:139], v9 offset:31360                    // 000000016EFC: D8EC7A80 8A000009
	ds_read_b64 v[140:141], v9 offset:32256                    // 000000016F04: D8EC7E00 8C000009
	ds_read_b64 v[142:143], v9 offset:32384                    // 000000016F0C: D8EC7E80 8E000009
	v_mov_b32_dpp v64, v42 row_shr:4 row_mask:0xf bank_mask:0xf// 000000016F14: 7E8002FA FF01142A
	v_mov_b32_dpp v65, v42 row_shl:4 row_mask:0xf bank_mask:0xf// 000000016F1C: 7E8202FA FF01042A
	v_cndmask_b32_e64 v248, v42, v64, s[44:45]                 // 000000016F24: D10000F8 00B2812A
	v_cndmask_b32_e64 v249, v65, v42, s[44:45]                 // 000000016F2C: D10000F9 00B25541
	v_mov_b32_dpp v64, v248 row_shr:8 row_mask:0xf bank_mask:0xf// 000000016F34: 7E8002FA FF0118F8
	v_mov_b32_dpp v65, v248 row_shl:8 row_mask:0xf bank_mask:0xf// 000000016F3C: 7E8202FA FF0108F8
	v_mov_b32_dpp v66, v249 row_shr:8 row_mask:0xf bank_mask:0xf// 000000016F44: 7E8402FA FF0118F9
	v_mov_b32_dpp v67, v249 row_shl:8 row_mask:0xf bank_mask:0xf// 000000016F4C: 7E8602FA FF0108F9
	v_mov_b32_e32 v68, v248                                    // 000000016F54: 7E8803F8
	v_mov_b32_e32 v69, v249                                    // 000000016F58: 7E8A03F9
	v_cndmask_b32_e64 v248, v68, v64, s[42:43]                 // 000000016F5C: D10000F8 00AA8144
	v_cndmask_b32_e64 v250, v68, v65, s[78:79]                 // 000000016F64: D10000FA 013A8344
	v_cndmask_b32_e64 v249, v69, v66, s[42:43]                 // 000000016F6C: D10000F9 00AA8545
	v_cndmask_b32_e64 v251, v69, v67, s[78:79]                 // 000000016F74: D10000FB 013A8745
	v_mov_b32_dpp v64, v57 row_shr:4 row_mask:0xf bank_mask:0xf// 000000016F7C: 7E8002FA FF011439
	v_mov_b32_dpp v65, v57 row_shl:4 row_mask:0xf bank_mask:0xf// 000000016F84: 7E8202FA FF010439
	v_cndmask_b32_e64 v252, v57, v64, s[44:45]                 // 000000016F8C: D10000FC 00B28139
	v_cndmask_b32_e64 v253, v65, v57, s[44:45]                 // 000000016F94: D10000FD 00B27341
	v_mov_b32_dpp v64, v252 row_shr:8 row_mask:0xf bank_mask:0xf// 000000016F9C: 7E8002FA FF0118FC
	v_mov_b32_dpp v65, v252 row_shl:8 row_mask:0xf bank_mask:0xf// 000000016FA4: 7E8202FA FF0108FC
	v_mov_b32_dpp v66, v253 row_shr:8 row_mask:0xf bank_mask:0xf// 000000016FAC: 7E8402FA FF0118FD
	v_mov_b32_dpp v67, v253 row_shl:8 row_mask:0xf bank_mask:0xf// 000000016FB4: 7E8602FA FF0108FD
	v_mov_b32_e32 v68, v252                                    // 000000016FBC: 7E8803FC
	v_mov_b32_e32 v69, v253                                    // 000000016FC0: 7E8A03FD
	v_cndmask_b32_e64 v252, v68, v64, s[42:43]                 // 000000016FC4: D10000FC 00AA8144
	v_cndmask_b32_e64 v254, v68, v65, s[78:79]                 // 000000016FCC: D10000FE 013A8344
	v_cndmask_b32_e64 v253, v69, v66, s[42:43]                 // 000000016FD4: D10000FD 00AA8545
	v_cndmask_b32_e64 v255, v69, v67, s[78:79]                 // 000000016FDC: D10000FF 013A8745
	v_cvt_f32_i32_e32 v144, v144                               // 000000016FE4: 7F200B90
	v_cvt_f32_i32_e32 v145, v145                               // 000000016FE8: 7F220B91
	v_cvt_f32_i32_e32 v146, v146                               // 000000016FEC: 7F240B92
	v_cvt_f32_i32_e32 v147, v147                               // 000000016FF0: 7F260B93
	v_cvt_f32_i32_e32 v148, v148                               // 000000016FF4: 7F280B94
	v_cvt_f32_i32_e32 v149, v149                               // 000000016FF8: 7F2A0B95
	v_cvt_f32_i32_e32 v150, v150                               // 000000016FFC: 7F2C0B96
	v_cvt_f32_i32_e32 v151, v151                               // 000000017000: 7F2E0B97
	v_cvt_f32_i32_e32 v152, v152                               // 000000017004: 7F300B98
	v_cvt_f32_i32_e32 v153, v153                               // 000000017008: 7F320B99
	v_cvt_f32_i32_e32 v154, v154                               // 00000001700C: 7F340B9A
	v_cvt_f32_i32_e32 v155, v155                               // 000000017010: 7F360B9B
	v_cvt_f32_i32_e32 v156, v156                               // 000000017014: 7F380B9C
	v_cvt_f32_i32_e32 v157, v157                               // 000000017018: 7F3A0B9D
	v_cvt_f32_i32_e32 v158, v158                               // 00000001701C: 7F3C0B9E
	v_cvt_f32_i32_e32 v159, v159                               // 000000017020: 7F3E0B9F
	v_mul_f32_e32 v144, v20, v144                              // 000000017024: 0B212114
	v_mul_f32_e32 v145, v20, v145                              // 000000017028: 0B232314
	v_mul_f32_e32 v146, v20, v146                              // 00000001702C: 0B252514
	v_mul_f32_e32 v147, v20, v147                              // 000000017030: 0B272714
	v_mul_f32_e32 v148, v20, v148                              // 000000017034: 0B292914
	v_mul_f32_e32 v149, v20, v149                              // 000000017038: 0B2B2B14
	v_mul_f32_e32 v150, v20, v150                              // 00000001703C: 0B2D2D14
	v_mul_f32_e32 v151, v20, v151                              // 000000017040: 0B2F2F14
	v_mul_f32_e32 v152, v20, v152                              // 000000017044: 0B313114
	v_mul_f32_e32 v153, v20, v153                              // 000000017048: 0B333314
	v_mul_f32_e32 v154, v20, v154                              // 00000001704C: 0B353514
	v_mul_f32_e32 v155, v20, v155                              // 000000017050: 0B373714
	v_mul_f32_e32 v156, v20, v156                              // 000000017054: 0B393914
	v_mul_f32_e32 v157, v20, v157                              // 000000017058: 0B3B3B14
	v_mul_f32_e32 v158, v20, v158                              // 00000001705C: 0B3D3D14
	v_mul_f32_e32 v159, v20, v159                              // 000000017060: 0B3F3F14
	v_mul_f32_dpp v144, v248, v144 quad_perm:[0,0,0,0] row_mask:0xf bank_mask:0xf// 000000017064: 0B2120FA FF0000F8
	v_mul_f32_dpp v145, v248, v145 quad_perm:[1,1,1,1] row_mask:0xf bank_mask:0xf// 00000001706C: 0B2322FA FF0055F8
	v_mul_f32_dpp v146, v248, v146 quad_perm:[2,2,2,2] row_mask:0xf bank_mask:0xf// 000000017074: 0B2524FA FF00AAF8
	v_mul_f32_dpp v147, v248, v147 quad_perm:[3,3,3,3] row_mask:0xf bank_mask:0xf// 00000001707C: 0B2726FA FF00FFF8
	v_mul_f32_dpp v148, v249, v148 quad_perm:[0,0,0,0] row_mask:0xf bank_mask:0xf// 000000017084: 0B2928FA FF0000F9
	v_mul_f32_dpp v149, v249, v149 quad_perm:[1,1,1,1] row_mask:0xf bank_mask:0xf// 00000001708C: 0B2B2AFA FF0055F9
	v_mul_f32_dpp v150, v249, v150 quad_perm:[2,2,2,2] row_mask:0xf bank_mask:0xf// 000000017094: 0B2D2CFA FF00AAF9
	v_mul_f32_dpp v151, v249, v151 quad_perm:[3,3,3,3] row_mask:0xf bank_mask:0xf// 00000001709C: 0B2F2EFA FF00FFF9
	v_mul_f32_dpp v152, v250, v152 quad_perm:[0,0,0,0] row_mask:0xf bank_mask:0xf// 0000000170A4: 0B3130FA FF0000FA
	v_mul_f32_dpp v153, v250, v153 quad_perm:[1,1,1,1] row_mask:0xf bank_mask:0xf// 0000000170AC: 0B3332FA FF0055FA
	v_mul_f32_dpp v154, v250, v154 quad_perm:[2,2,2,2] row_mask:0xf bank_mask:0xf// 0000000170B4: 0B3534FA FF00AAFA
	v_mul_f32_dpp v155, v250, v155 quad_perm:[3,3,3,3] row_mask:0xf bank_mask:0xf// 0000000170BC: 0B3736FA FF00FFFA
	v_mul_f32_dpp v156, v251, v156 quad_perm:[0,0,0,0] row_mask:0xf bank_mask:0xf// 0000000170C4: 0B3938FA FF0000FB
	v_mul_f32_dpp v157, v251, v157 quad_perm:[1,1,1,1] row_mask:0xf bank_mask:0xf// 0000000170CC: 0B3B3AFA FF0055FB
	v_mul_f32_dpp v158, v251, v158 quad_perm:[2,2,2,2] row_mask:0xf bank_mask:0xf// 0000000170D4: 0B3D3CFA FF00AAFB
	v_mul_f32_dpp v159, v251, v159 quad_perm:[3,3,3,3] row_mask:0xf bank_mask:0xf// 0000000170DC: 0B3F3EFA FF00FFFB
	s_cmp_le_i32 s90, s89                                      // 0000000170E4: BF05595A
	s_cbranch_scc1 label_542C                                  // 0000000170E8: BF850071
	v_mov_b32_e32 v66, 0xff800000                              // 0000000170EC: 7E8402FF FF800000
	s_mov_b32 s60, s90                                         // 0000000170F4: BEBC005A
	s_add_u32 s61, s89, 0xff                                   // 0000000170F8: 803DFF59 000000FF
	v_mov_b32_e32 v64, s61                                     // 000000017100: 7E80023D
	v_lshrrev_b32_e32 v240, 4, v0                              // 000000017104: 21E00084
	v_mul_i32_i24_e32 v240, 4, v240                            // 000000017108: 0DE1E084
	v_add_u32_e32 v240, s60, v240                              // 00000001710C: 69E1E03C
	s_mov_b32 s61, 2                                           // 000000017110: BEBD0082
	s_mul_i32 s60, 16, s7                                      // 000000017114: 923C0790
	v_sub_u32_e64 v240, v240, s61                              // 000000017118: D13500F0 00007BF0
	v_add_u32_e32 v240, s60, v240                              // 000000017120: 69E1E03C
	v_add_u32_e32 v241, 1, v240                                // 000000017124: 69E3E081
	v_add_u32_e32 v242, 2, v240                                // 000000017128: 69E5E082
	v_add_u32_e32 v243, 3, v240                                // 00000001712C: 69E7E083
	v_cmp_le_u32_e64 s[40:41], v240, v64                       // 000000017130: D0CB0028 000281F0
	v_add_u32_e32 v240, 64, v240                               // 000000017138: 69E1E0C0
	s_nop 0                                                    // 00000001713C: BF800000
	v_cndmask_b32_e64 v144, v66, v144, s[40:41]                // 000000017140: D1000090 00A32142
	v_cmp_le_u32_e64 s[40:41], v241, v64                       // 000000017148: D0CB0028 000281F1
	v_add_u32_e32 v241, 64, v241                               // 000000017150: 69E3E2C0
	s_nop 0                                                    // 000000017154: BF800000
	v_cndmask_b32_e64 v145, v66, v145, s[40:41]                // 000000017158: D1000091 00A32342
	v_cmp_le_u32_e64 s[40:41], v242, v64                       // 000000017160: D0CB0028 000281F2
	v_add_u32_e32 v242, 64, v242                               // 000000017168: 69E5E4C0
	s_nop 0                                                    // 00000001716C: BF800000
	v_cndmask_b32_e64 v146, v66, v146, s[40:41]                // 000000017170: D1000092 00A32542
	v_cmp_le_u32_e64 s[40:41], v243, v64                       // 000000017178: D0CB0028 000281F3
	v_add_u32_e32 v243, 64, v243                               // 000000017180: 69E7E6C0
	s_nop 0                                                    // 000000017184: BF800000
	v_cndmask_b32_e64 v147, v66, v147, s[40:41]                // 000000017188: D1000093 00A32742
	v_cmp_le_u32_e64 s[40:41], v240, v64                       // 000000017190: D0CB0028 000281F0
	v_add_u32_e32 v240, 64, v240                               // 000000017198: 69E1E0C0
	s_nop 0                                                    // 00000001719C: BF800000
	v_cndmask_b32_e64 v148, v66, v148, s[40:41]                // 0000000171A0: D1000094 00A32942
	v_cmp_le_u32_e64 s[40:41], v241, v64                       // 0000000171A8: D0CB0028 000281F1
	v_add_u32_e32 v241, 64, v241                               // 0000000171B0: 69E3E2C0
	s_nop 0                                                    // 0000000171B4: BF800000
	v_cndmask_b32_e64 v149, v66, v149, s[40:41]                // 0000000171B8: D1000095 00A32B42
	v_cmp_le_u32_e64 s[40:41], v242, v64                       // 0000000171C0: D0CB0028 000281F2
	v_add_u32_e32 v242, 64, v242                               // 0000000171C8: 69E5E4C0
	s_nop 0                                                    // 0000000171CC: BF800000
	v_cndmask_b32_e64 v150, v66, v150, s[40:41]                // 0000000171D0: D1000096 00A32D42
	v_cmp_le_u32_e64 s[40:41], v243, v64                       // 0000000171D8: D0CB0028 000281F3
	v_add_u32_e32 v243, 64, v243                               // 0000000171E0: 69E7E6C0
	s_nop 0                                                    // 0000000171E4: BF800000
	v_cndmask_b32_e64 v151, v66, v151, s[40:41]                // 0000000171E8: D1000097 00A32F42
	v_cmp_le_u32_e64 s[40:41], v240, v64                       // 0000000171F0: D0CB0028 000281F0
	v_add_u32_e32 v240, 64, v240                               // 0000000171F8: 69E1E0C0
	s_nop 0                                                    // 0000000171FC: BF800000
	v_cndmask_b32_e64 v152, v66, v152, s[40:41]                // 000000017200: D1000098 00A33142
	v_cmp_le_u32_e64 s[40:41], v241, v64                       // 000000017208: D0CB0028 000281F1
	v_add_u32_e32 v241, 64, v241                               // 000000017210: 69E3E2C0
	s_nop 0                                                    // 000000017214: BF800000
	v_cndmask_b32_e64 v153, v66, v153, s[40:41]                // 000000017218: D1000099 00A33342
	v_cmp_le_u32_e64 s[40:41], v242, v64                       // 000000017220: D0CB0028 000281F2
	v_add_u32_e32 v242, 64, v242                               // 000000017228: 69E5E4C0
	s_nop 0                                                    // 00000001722C: BF800000
	v_cndmask_b32_e64 v154, v66, v154, s[40:41]                // 000000017230: D100009A 00A33542
	v_cmp_le_u32_e64 s[40:41], v243, v64                       // 000000017238: D0CB0028 000281F3
	v_add_u32_e32 v243, 64, v243                               // 000000017240: 69E7E6C0
	s_nop 0                                                    // 000000017244: BF800000
	v_cndmask_b32_e64 v155, v66, v155, s[40:41]                // 000000017248: D100009B 00A33742
	v_cmp_le_u32_e64 s[40:41], v240, v64                       // 000000017250: D0CB0028 000281F0
	v_add_u32_e32 v240, 64, v240                               // 000000017258: 69E1E0C0
	s_nop 0                                                    // 00000001725C: BF800000
	v_cndmask_b32_e64 v156, v66, v156, s[40:41]                // 000000017260: D100009C 00A33942
	v_cmp_le_u32_e64 s[40:41], v241, v64                       // 000000017268: D0CB0028 000281F1
	v_add_u32_e32 v241, 64, v241                               // 000000017270: 69E3E2C0
	s_nop 0                                                    // 000000017274: BF800000
	v_cndmask_b32_e64 v157, v66, v157, s[40:41]                // 000000017278: D100009D 00A33B42
	v_cmp_le_u32_e64 s[40:41], v242, v64                       // 000000017280: D0CB0028 000281F2
	v_add_u32_e32 v242, 64, v242                               // 000000017288: 69E5E4C0
	s_nop 0                                                    // 00000001728C: BF800000
	v_cndmask_b32_e64 v158, v66, v158, s[40:41]                // 000000017290: D100009E 00A33D42
	v_cmp_le_u32_e64 s[40:41], v243, v64                       // 000000017298: D0CB0028 000281F3
	v_add_u32_e32 v243, 64, v243                               // 0000000172A0: 69E7E6C0
	s_nop 0                                                    // 0000000172A4: BF800000
	v_cndmask_b32_e64 v159, v66, v159, s[40:41]                // 0000000172A8: D100009F 00A33F42

00000000000172b0 <label_542C>:
	s_add_u32 s90, s91, s90                                    // 0000000172B0: 805A5A5B
	v_mov_b32_e32 v48, v144                                    // 0000000172B4: 7E600390
	v_max3_f32 v48, v144, v145, v48                            // 0000000172B8: D1D30030 04C32390
	v_max3_f32 v48, v146, v147, v48                            // 0000000172C0: D1D30030 04C32792
	v_max3_f32 v48, v148, v149, v48                            // 0000000172C8: D1D30030 04C32B94
	v_max3_f32 v48, v150, v151, v48                            // 0000000172D0: D1D30030 04C32F96
	v_max3_f32 v48, v152, v153, v48                            // 0000000172D8: D1D30030 04C33398
	v_max3_f32 v48, v154, v155, v48                            // 0000000172E0: D1D30030 04C3379A
	v_max3_f32 v48, v156, v157, v48                            // 0000000172E8: D1D30030 04C33B9C
	v_max3_f32 v48, v158, v159, v48                            // 0000000172F0: D1D30030 04C33F9E
	ds_write_b32 v8, v48 offset:16896                          // 0000000172F8: D81A4200 00003008
	v_mul_f32_e32 v224, v51, v224                              // 000000017300: 0BC1C133
	v_mul_f32_e32 v225, v51, v225                              // 000000017304: 0BC3C333
	v_mul_f32_e32 v226, v51, v226                              // 000000017308: 0BC5C533
	v_mul_f32_e32 v227, v51, v227                              // 00000001730C: 0BC7C733
	v_mul_f32_e32 v228, v51, v228                              // 000000017310: 0BC9C933
	v_mul_f32_e32 v229, v51, v229                              // 000000017314: 0BCBCB33
	v_mul_f32_e32 v230, v51, v230                              // 000000017318: 0BCDCD33
	v_mul_f32_e32 v231, v51, v231                              // 00000001731C: 0BCFCF33
	s_waitcnt lgkmcnt(0)                                       // 000000017320: BF8CC07F
	s_barrier                                                  // 000000017324: BF8A0000
	ds_read_b32 v64, v7 offset:16896                           // 000000017328: D86C4200 40000007
	ds_read_b32 v65, v7 offset:16960                           // 000000017330: D86C4240 41000007
	ds_read_b32 v66, v7 offset:17024                           // 000000017338: D86C4280 42000007
	ds_read_b32 v67, v7 offset:17088                           // 000000017340: D86C42C0 43000007
	ds_read_b32 v68, v7 offset:17152                           // 000000017348: D86C4300 44000007
	ds_read_b32 v69, v7 offset:17216                           // 000000017350: D86C4340 45000007
	ds_read_b32 v70, v7 offset:17280                           // 000000017358: D86C4380 46000007
	ds_read_b32 v71, v7 offset:17344                           // 000000017360: D86C43C0 47000007
	ds_read_b32 v72, v7 offset:17408                           // 000000017368: D86C4400 48000007
	ds_read_b32 v73, v7 offset:17472                           // 000000017370: D86C4440 49000007
	ds_read_b32 v74, v7 offset:17536                           // 000000017378: D86C4480 4A000007
	ds_read_b32 v75, v7 offset:17600                           // 000000017380: D86C44C0 4B000007
	ds_read_b32 v76, v7 offset:17664                           // 000000017388: D86C4500 4C000007
	ds_read_b32 v77, v7 offset:17728                           // 000000017390: D86C4540 4D000007
	ds_read_b32 v78, v7 offset:17792                           // 000000017398: D86C4580 4E000007
	ds_read_b32 v79, v7 offset:17856                           // 0000000173A0: D86C45C0 4F000007
	v_cvt_f32_i32_e32 v192, v192                               // 0000000173A8: 7F800BC0
	v_cvt_f32_i32_e32 v193, v193                               // 0000000173AC: 7F820BC1
	v_cvt_f32_i32_e32 v194, v194                               // 0000000173B0: 7F840BC2
	v_cvt_f32_i32_e32 v195, v195                               // 0000000173B4: 7F860BC3
	v_cvt_f32_i32_e32 v196, v196                               // 0000000173B8: 7F880BC4
	v_cvt_f32_i32_e32 v197, v197                               // 0000000173BC: 7F8A0BC5
	v_cvt_f32_i32_e32 v198, v198                               // 0000000173C0: 7F8C0BC6
	v_cvt_f32_i32_e32 v199, v199                               // 0000000173C4: 7F8E0BC7
	v_mul_f32_e32 v192, v46, v192                              // 0000000173C8: 0B81812E
	v_mul_f32_e32 v193, v46, v193                              // 0000000173CC: 0B83832E
	v_mul_f32_e32 v194, v46, v194                              // 0000000173D0: 0B85852E
	v_mul_f32_e32 v195, v46, v195                              // 0000000173D4: 0B87872E
	v_mul_f32_e32 v196, v46, v196                              // 0000000173D8: 0B89892E
	v_mul_f32_e32 v197, v46, v197                              // 0000000173DC: 0B8B8B2E
	v_mul_f32_e32 v198, v46, v198                              // 0000000173E0: 0B8D8D2E
	v_mul_f32_e32 v199, v46, v199                              // 0000000173E4: 0B8F8F2E
	s_waitcnt lgkmcnt(0)                                       // 0000000173E8: BF8CC07F
	v_max3_f32 v48, v64, v65, v48                              // 0000000173EC: D1D30030 04C28340
	v_max3_f32 v48, v66, v67, v48                              // 0000000173F4: D1D30030 04C28742
	v_max3_f32 v48, v68, v69, v48                              // 0000000173FC: D1D30030 04C28B44
	v_max3_f32 v48, v70, v71, v48                              // 000000017404: D1D30030 04C28F46
	v_max3_f32 v48, v72, v73, v48                              // 00000001740C: D1D30030 04C29348
	v_max3_f32 v48, v74, v75, v48                              // 000000017414: D1D30030 04C2974A
	v_max3_f32 v48, v76, v77, v48                              // 00000001741C: D1D30030 04C29B4C
	v_max3_f32 v48, v78, v79, v48                              // 000000017424: D1D30030 04C29F4E
	v_mov_b32_e32 v64, 0xff800000                              // 00000001742C: 7E8002FF FF800000
	v_cmp_eq_u32_e64 s[40:41], v64, v13                        // 000000017434: D0CA0028 00021B40
	s_nop 1                                                    // 00000001743C: BF800001
	v_max_f32_e32 v15, v48, v13                                // 000000017440: 161E1B30
	v_mul_f32_e32 v53, s64, v15                                // 000000017444: 0A6A1E40
	v_fma_f32 v144, v144, s64, -v53                            // 000000017448: D1CB0090 84D48190
	v_fma_f32 v145, v145, s64, -v53                            // 000000017450: D1CB0091 84D48191
	v_fma_f32 v146, v146, s64, -v53                            // 000000017458: D1CB0092 84D48192
	v_fma_f32 v147, v147, s64, -v53                            // 000000017460: D1CB0093 84D48193
	v_fma_f32 v148, v148, s64, -v53                            // 000000017468: D1CB0094 84D48194
	v_fma_f32 v149, v149, s64, -v53                            // 000000017470: D1CB0095 84D48195
	v_fma_f32 v150, v150, s64, -v53                            // 000000017478: D1CB0096 84D48196
	v_fma_f32 v151, v151, s64, -v53                            // 000000017480: D1CB0097 84D48197
	v_fma_f32 v152, v152, s64, -v53                            // 000000017488: D1CB0098 84D48198
	v_fma_f32 v153, v153, s64, -v53                            // 000000017490: D1CB0099 84D48199
	v_fma_f32 v154, v154, s64, -v53                            // 000000017498: D1CB009A 84D4819A
	v_fma_f32 v155, v155, s64, -v53                            // 0000000174A0: D1CB009B 84D4819B
	v_fma_f32 v156, v156, s64, -v53                            // 0000000174A8: D1CB009C 84D4819C
	v_fma_f32 v157, v157, s64, -v53                            // 0000000174B0: D1CB009D 84D4819D
	v_fma_f32 v158, v158, s64, -v53                            // 0000000174B8: D1CB009E 84D4819E
	v_fma_f32 v159, v159, s64, -v53                            // 0000000174C0: D1CB009F 84D4819F
	v_exp_f32_e32 v144, v144                                   // 0000000174C8: 7F204190
	v_exp_f32_e32 v145, v145                                   // 0000000174CC: 7F224191
	v_exp_f32_e32 v146, v146                                   // 0000000174D0: 7F244192
	v_exp_f32_e32 v147, v147                                   // 0000000174D4: 7F264193
	v_exp_f32_e32 v148, v148                                   // 0000000174D8: 7F284194
	v_exp_f32_e32 v149, v149                                   // 0000000174DC: 7F2A4195
	v_exp_f32_e32 v150, v150                                   // 0000000174E0: 7F2C4196
	v_exp_f32_e32 v151, v151                                   // 0000000174E4: 7F2E4197
	v_exp_f32_e32 v152, v152                                   // 0000000174E8: 7F304198
	v_exp_f32_e32 v153, v153                                   // 0000000174EC: 7F324199
	v_exp_f32_e32 v154, v154                                   // 0000000174F0: 7F34419A
	v_exp_f32_e32 v155, v155                                   // 0000000174F4: 7F36419B
	v_exp_f32_e32 v156, v156                                   // 0000000174F8: 7F38419C
	v_exp_f32_e32 v157, v157                                   // 0000000174FC: 7F3A419D
	v_exp_f32_e32 v158, v158                                   // 000000017500: 7F3C419E
	v_exp_f32_e32 v159, v159                                   // 000000017504: 7F3E419F
	v_mul_f32_dpp v240, v252, v144 quad_perm:[0,0,0,0] row_mask:0xf bank_mask:0xf// 000000017508: 0BE120FA FF0000FC
	v_mul_f32_dpp v241, v252, v145 quad_perm:[1,1,1,1] row_mask:0xf bank_mask:0xf// 000000017510: 0BE322FA FF0055FC
	v_mul_f32_dpp v242, v252, v146 quad_perm:[2,2,2,2] row_mask:0xf bank_mask:0xf// 000000017518: 0BE524FA FF00AAFC
	v_mul_f32_dpp v243, v252, v147 quad_perm:[3,3,3,3] row_mask:0xf bank_mask:0xf// 000000017520: 0BE726FA FF00FFFC
	v_mul_f32_dpp v244, v253, v148 quad_perm:[0,0,0,0] row_mask:0xf bank_mask:0xf// 000000017528: 0BE928FA FF0000FD
	v_mul_f32_dpp v245, v253, v149 quad_perm:[1,1,1,1] row_mask:0xf bank_mask:0xf// 000000017530: 0BEB2AFA FF0055FD
	v_mul_f32_dpp v246, v253, v150 quad_perm:[2,2,2,2] row_mask:0xf bank_mask:0xf// 000000017538: 0BED2CFA FF00AAFD
	v_mul_f32_dpp v247, v253, v151 quad_perm:[3,3,3,3] row_mask:0xf bank_mask:0xf// 000000017540: 0BEF2EFA FF00FFFD
	v_mul_f32_dpp v248, v254, v152 quad_perm:[0,0,0,0] row_mask:0xf bank_mask:0xf// 000000017548: 0BF130FA FF0000FE
	v_mul_f32_dpp v249, v254, v153 quad_perm:[1,1,1,1] row_mask:0xf bank_mask:0xf// 000000017550: 0BF332FA FF0055FE
	v_mul_f32_dpp v250, v254, v154 quad_perm:[2,2,2,2] row_mask:0xf bank_mask:0xf// 000000017558: 0BF534FA FF00AAFE
	v_mul_f32_dpp v251, v254, v155 quad_perm:[3,3,3,3] row_mask:0xf bank_mask:0xf// 000000017560: 0BF736FA FF00FFFE
	v_mul_f32_dpp v252, v255, v156 quad_perm:[0,0,0,0] row_mask:0xf bank_mask:0xf// 000000017568: 0BF938FA FF0000FF
	v_mul_f32_dpp v253, v255, v157 quad_perm:[1,1,1,1] row_mask:0xf bank_mask:0xf// 000000017570: 0BFB3AFA FF0055FF
	v_mul_f32_dpp v254, v255, v158 quad_perm:[2,2,2,2] row_mask:0xf bank_mask:0xf// 000000017578: 0BFD3CFA FF00AAFF
	v_mul_f32_dpp v255, v255, v159 quad_perm:[3,3,3,3] row_mask:0xf bank_mask:0xf// 000000017580: 0BFF3EFA FF00FFFF
	v_mov_b32_e32 v48, 0x358637bd                              // 000000017588: 7E6002FF 358637BD
	v_max3_f32 v48, |v240|, |v241|, v48                        // 000000017590: D1D30330 04C3E3F0
	v_max3_f32 v48, |v242|, |v243|, v48                        // 000000017598: D1D30330 04C3E7F2
	v_max3_f32 v48, |v244|, |v245|, v48                        // 0000000175A0: D1D30330 04C3EBF4
	v_max3_f32 v48, |v246|, |v247|, v48                        // 0000000175A8: D1D30330 04C3EFF6
	v_max3_f32 v48, |v248|, |v249|, v48                        // 0000000175B0: D1D30330 04C3F3F8
	v_max3_f32 v48, |v250|, |v251|, v48                        // 0000000175B8: D1D30330 04C3F7FA
	v_max3_f32 v48, |v252|, |v253|, v48                        // 0000000175C0: D1D30330 04C3FBFC
	v_max3_f32 v48, |v254|, |v255|, v48                        // 0000000175C8: D1D30330 04C3FFFE
	ds_write_b32 v8, v48 offset:20992                          // 0000000175D0: D81A5200 00003008
	v_sub_f32_e32 v51, v13, v15                                // 0000000175D8: 04661F0D
	v_cndmask_b32_e64 v51, v51, 0, s[40:41]                    // 0000000175DC: D1000033 00A10133
	v_mov_b32_e32 v13, v15                                     // 0000000175E4: 7E1A030F
	v_mul_f32_e32 v51, s64, v51                                // 0000000175E8: 0A666640
	v_exp_f32_e32 v51, v51                                     // 0000000175EC: 7E664133
	s_waitcnt lgkmcnt(0)                                       // 0000000175F0: BF8CC07F
	s_barrier                                                  // 0000000175F4: BF8A0000
	ds_read_b32 v64, v7 offset:20992                           // 0000000175F8: D86C5200 40000007
	ds_read_b32 v65, v7 offset:21056                           // 000000017600: D86C5240 41000007
	ds_read_b32 v66, v7 offset:21120                           // 000000017608: D86C5280 42000007
	ds_read_b32 v67, v7 offset:21184                           // 000000017610: D86C52C0 43000007
	ds_read_b32 v68, v7 offset:21248                           // 000000017618: D86C5300 44000007
	ds_read_b32 v69, v7 offset:21312                           // 000000017620: D86C5340 45000007
	ds_read_b32 v70, v7 offset:21376                           // 000000017628: D86C5380 46000007
	ds_read_b32 v71, v7 offset:21440                           // 000000017630: D86C53C0 47000007
	ds_read_b32 v72, v7 offset:21504                           // 000000017638: D86C5400 48000007
	ds_read_b32 v73, v7 offset:21568                           // 000000017640: D86C5440 49000007
	ds_read_b32 v74, v7 offset:21632                           // 000000017648: D86C5480 4A000007
	ds_read_b32 v75, v7 offset:21696                           // 000000017650: D86C54C0 4B000007
	ds_read_b32 v76, v7 offset:21760                           // 000000017658: D86C5500 4C000007
	ds_read_b32 v77, v7 offset:21824                           // 000000017660: D86C5540 4D000007
	ds_read_b32 v78, v7 offset:21888                           // 000000017668: D86C5580 4E000007
	ds_read_b32 v79, v7 offset:21952                           // 000000017670: D86C55C0 4F000007
	v_mul_f32_e32 v40, v51, v40                                // 000000017678: 0A505133
	v_mov_b32_e32 v15, v144                                    // 00000001767C: 7E1E0390
	v_add_f32_e32 v15, v145, v15                               // 000000017680: 021E1F91
	v_add_f32_e32 v15, v146, v15                               // 000000017684: 021E1F92
	v_add_f32_e32 v15, v147, v15                               // 000000017688: 021E1F93
	v_add_f32_e32 v15, v148, v15                               // 00000001768C: 021E1F94
	v_add_f32_e32 v15, v149, v15                               // 000000017690: 021E1F95
	v_add_f32_e32 v15, v150, v15                               // 000000017694: 021E1F96
	v_add_f32_e32 v15, v151, v15                               // 000000017698: 021E1F97
	v_add_f32_e32 v15, v152, v15                               // 00000001769C: 021E1F98
	v_add_f32_e32 v15, v153, v15                               // 0000000176A0: 021E1F99
	v_add_f32_e32 v15, v154, v15                               // 0000000176A4: 021E1F9A
	v_add_f32_e32 v15, v155, v15                               // 0000000176A8: 021E1F9B
	v_add_f32_e32 v15, v156, v15                               // 0000000176AC: 021E1F9C
	v_add_f32_e32 v15, v157, v15                               // 0000000176B0: 021E1F9D
	v_add_f32_e32 v15, v158, v15                               // 0000000176B4: 021E1F9E
	v_add_f32_e32 v15, v159, v15                               // 0000000176B8: 021E1F9F
	v_add_f32_e32 v40, v15, v40                                // 0000000176BC: 0250510F
	s_waitcnt lgkmcnt(0)                                       // 0000000176C0: BF8CC07F
	v_max3_f32 v48, |v64|, |v65|, v48                          // 0000000176C4: D1D30330 04C28340
	v_max3_f32 v48, |v66|, |v67|, v48                          // 0000000176CC: D1D30330 04C28742
	v_max3_f32 v48, |v68|, |v69|, v48                          // 0000000176D4: D1D30330 04C28B44
	v_max3_f32 v48, |v70|, |v71|, v48                          // 0000000176DC: D1D30330 04C28F46
	v_max3_f32 v48, |v72|, |v73|, v48                          // 0000000176E4: D1D30330 04C29348
	v_max3_f32 v48, |v74|, |v75|, v48                          // 0000000176EC: D1D30330 04C2974A
	v_max3_f32 v48, |v76|, |v77|, v48                          // 0000000176F4: D1D30330 04C29B4C
	v_max3_f32 v48, |v78|, |v79|, v48                          // 0000000176FC: D1D30330 04C29F4E
	s_nop 2                                                    // 000000017704: BF800002
	v_rcp_f32_e32 v48, v48                                     // 000000017708: 7E604530
	s_nop 1                                                    // 00000001770C: BF800001
	v_mul_f32_e32 v48, 0x42fe0000, v48                         // 000000017710: 0A6060FF 42FE0000
	v_mul_f32_e32 v144, v48, v240                              // 000000017718: 0B21E130
	v_mul_f32_e32 v145, v48, v241                              // 00000001771C: 0B23E330
	v_mul_f32_e32 v146, v48, v242                              // 000000017720: 0B25E530
	v_mul_f32_e32 v147, v48, v243                              // 000000017724: 0B27E730
	v_mul_f32_e32 v148, v48, v244                              // 000000017728: 0B29E930
	v_mul_f32_e32 v149, v48, v245                              // 00000001772C: 0B2BEB30
	v_mul_f32_e32 v150, v48, v246                              // 000000017730: 0B2DED30
	v_mul_f32_e32 v151, v48, v247                              // 000000017734: 0B2FEF30
	v_mul_f32_e32 v152, v48, v248                              // 000000017738: 0B31F130
	v_mul_f32_e32 v153, v48, v249                              // 00000001773C: 0B33F330
	v_mul_f32_e32 v154, v48, v250                              // 000000017740: 0B35F530
	v_mul_f32_e32 v155, v48, v251                              // 000000017744: 0B37F730
	v_mul_f32_e32 v156, v48, v252                              // 000000017748: 0B39F930
	v_mul_f32_e32 v157, v48, v253                              // 00000001774C: 0B3BFB30
	v_mul_f32_e32 v158, v48, v254                              // 000000017750: 0B3DFD30
	v_mul_f32_e32 v159, v48, v255                              // 000000017754: 0B3FFF30
	v_cvt_i32_f32_e32 v144, v144                               // 000000017758: 7F201190
	v_cvt_i32_f32_e32 v145, v145                               // 00000001775C: 7F221191
	v_cvt_i32_f32_e32 v146, v146                               // 000000017760: 7F241192
	v_cvt_i32_f32_e32 v147, v147                               // 000000017764: 7F261193
	v_cvt_i32_f32_e32 v148, v148                               // 000000017768: 7F281194
	v_cvt_i32_f32_e32 v149, v149                               // 00000001776C: 7F2A1195
	v_cvt_i32_f32_e32 v150, v150                               // 000000017770: 7F2C1196
	v_cvt_i32_f32_e32 v151, v151                               // 000000017774: 7F2E1197
	v_cvt_i32_f32_e32 v152, v152                               // 000000017778: 7F301198
	v_cvt_i32_f32_e32 v153, v153                               // 00000001777C: 7F321199
	v_cvt_i32_f32_e32 v154, v154                               // 000000017780: 7F34119A
	v_cvt_i32_f32_e32 v155, v155                               // 000000017784: 7F36119B
	v_cvt_i32_f32_e32 v156, v156                               // 000000017788: 7F38119C
	v_cvt_i32_f32_e32 v157, v157                               // 00000001778C: 7F3A119D
	v_cvt_i32_f32_e32 v158, v158                               // 000000017790: 7F3C119E
	v_cvt_i32_f32_e32 v159, v159                               // 000000017794: 7F3E119F
	v_perm_b32 v144, v145, v144, s53                           // 000000017798: D1ED0090 00D72191
	v_perm_b32 v144, v146, v144, s54                           // 0000000177A0: D1ED0090 00DB2192
	v_perm_b32 v144, v147, v144, s55                           // 0000000177A8: D1ED0090 00DF2193
	v_perm_b32 v145, v149, v148, s53                           // 0000000177B0: D1ED0091 00D72995
	v_perm_b32 v145, v150, v145, s54                           // 0000000177B8: D1ED0091 00DB2396
	v_perm_b32 v145, v151, v145, s55                           // 0000000177C0: D1ED0091 00DF2397
	v_perm_b32 v146, v153, v152, s53                           // 0000000177C8: D1ED0092 00D73199
	v_perm_b32 v146, v154, v146, s54                           // 0000000177D0: D1ED0092 00DB259A
	v_perm_b32 v146, v155, v146, s55                           // 0000000177D8: D1ED0092 00DF259B
	v_perm_b32 v147, v157, v156, s53                           // 0000000177E0: D1ED0093 00D7399D
	v_perm_b32 v147, v158, v147, s54                           // 0000000177E8: D1ED0093 00DB279E
	v_perm_b32 v147, v159, v147, s55                           // 0000000177F0: D1ED0093 00DF279F
	ds_write_b32 v10, v144 offset:33280                        // 0000000177F8: D81A8200 0000900A
	ds_write_b32 v10, v145 offset:34304                        // 000000017800: D81A8600 0000910A
	ds_write_b32 v10, v146 offset:35328                        // 000000017808: D81A8A00 0000920A
	ds_write_b32 v10, v147 offset:36352                        // 000000017810: D81A8E00 0000930A
	v_add_f32_e32 v224, v224, v192                             // 000000017818: 03C181E0
	v_add_f32_e32 v225, v225, v193                             // 00000001781C: 03C383E1
	v_add_f32_e32 v226, v226, v194                             // 000000017820: 03C585E2
	v_add_f32_e32 v227, v227, v195                             // 000000017824: 03C787E3
	v_add_f32_e32 v228, v228, v196                             // 000000017828: 03C989E4
	v_add_f32_e32 v229, v229, v197                             // 00000001782C: 03CB8BE5
	v_add_f32_e32 v230, v230, v198                             // 000000017830: 03CD8DE6
	v_add_f32_e32 v231, v231, v199                             // 000000017834: 03CF8FE7
	v_rcp_f32_e32 v46, v48                                     // 000000017838: 7E5C4530
	s_waitcnt lgkmcnt(0)                                       // 00000001783C: BF8CC07F
	s_barrier                                                  // 000000017840: BF8A0000
	ds_read_b64 v[144:145], v9 offset:33280                    // 000000017844: D8EC8200 90000009
	ds_read_b64 v[146:147], v9 offset:33408                    // 00000001784C: D8EC8280 92000009
	ds_read_b64 v[148:149], v9 offset:34304                    // 000000017854: D8EC8600 94000009
	ds_read_b64 v[150:151], v9 offset:34432                    // 00000001785C: D8EC8680 96000009
	ds_read_b64 v[152:153], v9 offset:35328                    // 000000017864: D8EC8A00 98000009
	ds_read_b64 v[154:155], v9 offset:35456                    // 00000001786C: D8EC8A80 9A000009
	ds_read_b64 v[156:157], v9 offset:36352                    // 000000017874: D8EC8E00 9C000009
	ds_read_b64 v[158:159], v9 offset:36480                    // 00000001787C: D8EC8E80 9E000009
	s_waitcnt vmcnt(15)                                        // 000000017884: BF8C0F7F
	v_mfma_i32_16x16x32_i8 v[176:179], a[64:65], v[112:113], 0 // 000000017888: D3D700B0 0A02E140
	buffer_load_dwordx4 a[112:115], v34, s[20:23], 0 offen offset:1024// 000000017890: E05C1400 80857022
	v_mfma_i32_16x16x32_i8 v[176:179], a[66:67], v[114:115], v[176:179]// 000000017898: D3D700B0 0EC2E542
	v_mfma_i32_16x16x32_i8 v[176:179], a[68:69], v[116:117], v[176:179]// 0000000178A0: D3D700B0 0EC2E944
	v_mfma_i32_16x16x32_i8 v[176:179], a[70:71], v[118:119], v[176:179]// 0000000178A8: D3D700B0 0EC2ED46
	v_mfma_i32_16x16x32_i8 v[176:179], a[72:73], v[120:121], v[176:179]// 0000000178B0: D3D700B0 0EC2F148
	buffer_load_dwordx4 a[116:119], v35, s[20:23], 0 offen offset:1024// 0000000178B8: E05C1400 80857423
	v_mfma_i32_16x16x32_i8 v[176:179], a[74:75], v[122:123], v[176:179]// 0000000178C0: D3D700B0 0EC2F54A
	v_mfma_i32_16x16x32_i8 v[176:179], a[76:77], v[124:125], v[176:179]// 0000000178C8: D3D700B0 0EC2F94C
	v_mfma_i32_16x16x32_i8 v[176:179], a[78:79], v[126:127], v[176:179]// 0000000178D0: D3D700B0 0EC2FD4E
	v_mfma_i32_16x16x32_i8 v[180:183], a[80:81], v[112:113], 0 // 0000000178D8: D3D700B4 0A02E150
	buffer_load_dwordx4 a[120:123], v36, s[20:23], 0 offen offset:1024// 0000000178E0: E05C1400 80857824
	v_mfma_i32_16x16x32_i8 v[180:183], a[82:83], v[114:115], v[180:183]// 0000000178E8: D3D700B4 0ED2E552
	v_mfma_i32_16x16x32_i8 v[180:183], a[84:85], v[116:117], v[180:183]// 0000000178F0: D3D700B4 0ED2E954
	v_mfma_i32_16x16x32_i8 v[180:183], a[86:87], v[118:119], v[180:183]// 0000000178F8: D3D700B4 0ED2ED56
	v_mfma_i32_16x16x32_i8 v[180:183], a[88:89], v[120:121], v[180:183]// 000000017900: D3D700B4 0ED2F158
	buffer_load_dwordx4 a[124:127], v37, s[20:23], 0 offen offset:1024// 000000017908: E05C1400 80857C25
	v_mfma_i32_16x16x32_i8 v[180:183], a[90:91], v[122:123], v[180:183]// 000000017910: D3D700B4 0ED2F55A
	v_mfma_i32_16x16x32_i8 v[180:183], a[92:93], v[124:125], v[180:183]// 000000017918: D3D700B4 0ED2F95C
	s_lshr_b32 s57, s70, 4                                     // 000000017920: 8F398446
	s_add_u32 s57, 48, s57                                     // 000000017924: 803939B0
	v_mfma_i32_16x16x32_i8 v[180:183], a[94:95], v[126:127], v[180:183]// 000000017928: D3D700B4 0ED2FD5E
	s_cmp_ge_u32 s57, s73                                      // 000000017930: BF094939
	s_cselect_b32 s56, 0, s56                                  // 000000017934: 85383880
	v_mfma_i32_16x16x32_i8 v[184:187], a[64:65], v[128:129], 0 // 000000017938: D3D700B8 0A030140
	v_mfma_i32_16x16x32_i8 v[184:187], a[66:67], v[130:131], v[184:187]// 000000017940: D3D700B8 0EE30542
	v_mfma_i32_16x16x32_i8 v[184:187], a[68:69], v[132:133], v[184:187]// 000000017948: D3D700B8 0EE30944
	v_mfma_i32_16x16x32_i8 v[184:187], a[70:71], v[134:135], v[184:187]// 000000017950: D3D700B8 0EE30D46
	v_mfma_i32_16x16x32_i8 v[184:187], a[72:73], v[136:137], v[184:187]// 000000017958: D3D700B8 0EE31148
	v_mfma_i32_16x16x32_i8 v[184:187], a[74:75], v[138:139], v[184:187]// 000000017960: D3D700B8 0EE3154A
	v_mfma_i32_16x16x32_i8 v[184:187], a[76:77], v[140:141], v[184:187]// 000000017968: D3D700B8 0EE3194C
	v_mfma_i32_16x16x32_i8 v[184:187], a[78:79], v[142:143], v[184:187]// 000000017970: D3D700B8 0EE31D4E
	v_mfma_i32_16x16x32_i8 v[188:191], a[80:81], v[128:129], 0 // 000000017978: D3D700BC 0A030150
	v_mfma_i32_16x16x32_i8 v[188:191], a[82:83], v[130:131], v[188:191]// 000000017980: D3D700BC 0EF30552
	v_mfma_i32_16x16x32_i8 v[188:191], a[84:85], v[132:133], v[188:191]// 000000017988: D3D700BC 0EF30954
	v_mfma_i32_16x16x32_i8 v[188:191], a[86:87], v[134:135], v[188:191]// 000000017990: D3D700BC 0EF30D56
	v_mfma_i32_16x16x32_i8 v[188:191], a[88:89], v[136:137], v[188:191]// 000000017998: D3D700BC 0EF31158
	v_mfma_i32_16x16x32_i8 v[188:191], a[90:91], v[138:139], v[188:191]// 0000000179A0: D3D700BC 0EF3155A
	v_mfma_i32_16x16x32_i8 v[188:191], a[92:93], v[140:141], v[188:191]// 0000000179A8: D3D700BC 0EF3195C
	v_mfma_i32_16x16x32_i8 v[188:191], a[94:95], v[142:143], v[188:191]// 0000000179B0: D3D700BC 0EF31D5E
	v_mfma_i32_16x16x32_i8 v[192:195], a[64:65], v[144:145], 0 // 0000000179B8: D3D700C0 0A032140
	v_mfma_i32_16x16x32_i8 v[192:195], a[66:67], v[146:147], v[192:195]// 0000000179C0: D3D700C0 0F032542
	v_mfma_i32_16x16x32_i8 v[192:195], a[68:69], v[148:149], v[192:195]// 0000000179C8: D3D700C0 0F032944
	v_mfma_i32_16x16x32_i8 v[192:195], a[70:71], v[150:151], v[192:195]// 0000000179D0: D3D700C0 0F032D46
	v_mfma_i32_16x16x32_i8 v[192:195], a[72:73], v[152:153], v[192:195]// 0000000179D8: D3D700C0 0F033148
	v_mfma_i32_16x16x32_i8 v[192:195], a[74:75], v[154:155], v[192:195]// 0000000179E0: D3D700C0 0F03354A
	v_mfma_i32_16x16x32_i8 v[192:195], a[76:77], v[156:157], v[192:195]// 0000000179E8: D3D700C0 0F03394C
	v_mfma_i32_16x16x32_i8 v[192:195], a[78:79], v[158:159], v[192:195]// 0000000179F0: D3D700C0 0F033D4E
	v_mfma_i32_16x16x32_i8 v[196:199], a[80:81], v[144:145], 0 // 0000000179F8: D3D700C4 0A032150
	v_mfma_i32_16x16x32_i8 v[196:199], a[82:83], v[146:147], v[196:199]// 000000017A00: D3D700C4 0F132552
	v_mfma_i32_16x16x32_i8 v[196:199], a[84:85], v[148:149], v[196:199]// 000000017A08: D3D700C4 0F132954
	v_mfma_i32_16x16x32_i8 v[196:199], a[86:87], v[150:151], v[196:199]// 000000017A10: D3D700C4 0F132D56
	v_mfma_i32_16x16x32_i8 v[196:199], a[88:89], v[152:153], v[196:199]// 000000017A18: D3D700C4 0F133158
	v_mfma_i32_16x16x32_i8 v[196:199], a[90:91], v[154:155], v[196:199]// 000000017A20: D3D700C4 0F13355A
	v_mfma_i32_16x16x32_i8 v[196:199], a[92:93], v[156:157], v[196:199]// 000000017A28: D3D700C4 0F13395C
	v_mfma_i32_16x16x32_i8 v[196:199], a[94:95], v[158:159], v[196:199]// 000000017A30: D3D700C4 0F133D5E
	v_add_u32_e32 v1, s56, v1                                  // 000000017A38: 68020238
	s_addk_i32 s70, 0x100                                      // 000000017A3C: B7460100
	s_cmp_lt_i32 s70, s71                                      // 000000017A40: BF044746
	s_cbranch_scc0 label_4DEF                                  // 000000017A44: BF84F7DD
	s_waitcnt vmcnt(8) lgkmcnt(0)                              // 000000017A48: BF8C0078
	v_mul_u32_u24_dpp v64, v16, v54 row_newbcast:0 row_mask:0xf bank_mask:0xf// 000000017A4C: 10806CFA FF015010
	v_mul_u32_u24_dpp v65, v16, v54 row_newbcast:4 row_mask:0xf bank_mask:0xf// 000000017A54: 10826CFA FF015410
	v_mul_u32_u24_dpp v66, v16, v54 row_newbcast:8 row_mask:0xf bank_mask:0xf// 000000017A5C: 10846CFA FF015810
	v_mul_u32_u24_dpp v67, v16, v54 row_newbcast:12 row_mask:0xf bank_mask:0xf// 000000017A64: 10866CFA FF015C10
	v_add_u32_e32 v22, v64, v5                                 // 000000017A6C: 682C0B40
	v_add_u32_e32 v23, v65, v5                                 // 000000017A70: 682E0B41
	v_add_u32_e32 v24, v66, v5                                 // 000000017A74: 68300B42
	v_add_u32_e32 v25, v67, v5                                 // 000000017A78: 68320B43
	v_mul_u32_u24_dpp v64, v16, v63 quad_perm:[0,0,0,0] row_mask:0xf bank_mask:0xf// 000000017A7C: 10807EFA FF000010
	v_add_u32_e32 v2, v64, v59                                 // 000000017A84: 68047740
	v_mul_u32_u24_dpp v64, v16, v63 quad_perm:[0,0,0,0] row_mask:0xf bank_mask:0xf// 000000017A88: 10807EFA FF000010
	v_add_u32_e32 v55, v64, v60                                // 000000017A90: 686E7940
	v_mfma_i32_16x16x32_i8 v[112:115], a[32:33], v[80:81], 0   // 000000017A94: D3D70070 0A02A120
	buffer_load_dwordx4 a[0:3], v22, s[16:19], 0 offen         // 000000017A9C: E05C1000 80840016
	v_mfma_i32_16x16x32_i8 v[112:115], a[34:35], v[82:83], v[112:115]// 000000017AA4: D3D70070 0DC2A522
	v_mfma_i32_16x16x32_i8 v[112:115], a[36:37], v[84:85], v[112:115]// 000000017AAC: D3D70070 0DC2A924
	buffer_load_dword v17, v1, s[24:27], 0 offen               // 000000017AB4: E0501000 80061101
	v_mfma_i32_16x16x32_i8 v[112:115], a[38:39], v[86:87], v[112:115]// 000000017ABC: D3D70070 0DC2AD26
	v_mfma_i32_16x16x32_i8 v[116:119], a[40:41], v[80:81], 0   // 000000017AC4: D3D70074 0A02A128
	buffer_load_dwordx4 a[4:7], v22, s[16:19], 0 offen offset:1024// 000000017ACC: E05C1400 80840416
	v_mfma_i32_16x16x32_i8 v[116:119], a[42:43], v[82:83], v[116:119]// 000000017AD4: D3D70074 0DD2A52A
	v_mfma_i32_16x16x32_i8 v[116:119], a[44:45], v[84:85], v[116:119]// 000000017ADC: D3D70074 0DD2A92C
	v_mfma_i32_16x16x32_i8 v[116:119], a[46:47], v[86:87], v[116:119]// 000000017AE4: D3D70074 0DD2AD2E
	v_mfma_i32_16x16x32_i8 v[120:123], a[48:49], v[80:81], 0   // 000000017AEC: D3D70078 0A02A130
	buffer_load_dwordx4 a[8:11], v23, s[16:19], 0 offen        // 000000017AF4: E05C1000 80840817
	v_mfma_i32_16x16x32_i8 v[120:123], a[50:51], v[82:83], v[120:123]// 000000017AFC: D3D70078 0DE2A532
	v_mfma_i32_16x16x32_i8 v[120:123], a[52:53], v[84:85], v[120:123]// 000000017B04: D3D70078 0DE2A934
	v_mfma_i32_16x16x32_i8 v[120:123], a[54:55], v[86:87], v[120:123]// 000000017B0C: D3D70078 0DE2AD36
	v_mfma_i32_16x16x32_i8 v[124:127], a[56:57], v[80:81], 0   // 000000017B14: D3D7007C 0A02A138
	buffer_load_dwordx4 a[12:15], v23, s[16:19], 0 offen offset:1024// 000000017B1C: E05C1400 80840C17
	v_mfma_i32_16x16x32_i8 v[124:127], a[58:59], v[82:83], v[124:127]// 000000017B24: D3D7007C 0DF2A53A
	v_mfma_i32_16x16x32_i8 v[124:127], a[60:61], v[84:85], v[124:127]// 000000017B2C: D3D7007C 0DF2A93C
	v_mfma_i32_16x16x32_i8 v[124:127], a[62:63], v[86:87], v[124:127]// 000000017B34: D3D7007C 0DF2AD3E
	v_mfma_i32_16x16x32_i8 v[128:131], a[32:33], v[88:89], 0   // 000000017B3C: D3D70080 0A02B120
	v_mfma_i32_16x16x32_i8 v[128:131], a[34:35], v[90:91], v[128:131]// 000000017B44: D3D70080 0E02B522
	v_mfma_i32_16x16x32_i8 v[128:131], a[36:37], v[92:93], v[128:131]// 000000017B4C: D3D70080 0E02B924
	v_mfma_i32_16x16x32_i8 v[128:131], a[38:39], v[94:95], v[128:131]// 000000017B54: D3D70080 0E02BD26
	v_mfma_i32_16x16x32_i8 v[132:135], a[40:41], v[88:89], 0   // 000000017B5C: D3D70084 0A02B128
	v_mfma_i32_16x16x32_i8 v[132:135], a[42:43], v[90:91], v[132:135]// 000000017B64: D3D70084 0E12B52A
	v_mfma_i32_16x16x32_i8 v[132:135], a[44:45], v[92:93], v[132:135]// 000000017B6C: D3D70084 0E12B92C
	v_mfma_i32_16x16x32_i8 v[132:135], a[46:47], v[94:95], v[132:135]// 000000017B74: D3D70084 0E12BD2E
	v_mfma_i32_16x16x32_i8 v[136:139], a[48:49], v[88:89], 0   // 000000017B7C: D3D70088 0A02B130
	v_mfma_i32_16x16x32_i8 v[136:139], a[50:51], v[90:91], v[136:139]// 000000017B84: D3D70088 0E22B532
	v_mfma_i32_16x16x32_i8 v[136:139], a[52:53], v[92:93], v[136:139]// 000000017B8C: D3D70088 0E22B934
	v_mfma_i32_16x16x32_i8 v[136:139], a[54:55], v[94:95], v[136:139]// 000000017B94: D3D70088 0E22BD36
	v_mfma_i32_16x16x32_i8 v[140:143], a[56:57], v[88:89], 0   // 000000017B9C: D3D7008C 0A02B138
	v_mfma_i32_16x16x32_i8 v[140:143], a[58:59], v[90:91], v[140:143]// 000000017BA4: D3D7008C 0E32B53A
	v_mfma_i32_16x16x32_i8 v[140:143], a[60:61], v[92:93], v[140:143]// 000000017BAC: D3D7008C 0E32B93C
	v_mfma_i32_16x16x32_i8 v[140:143], a[62:63], v[94:95], v[140:143]// 000000017BB4: D3D7008C 0E32BD3E
	v_mfma_i32_16x16x32_i8 v[144:147], a[32:33], v[96:97], 0   // 000000017BBC: D3D70090 0A02C120
	v_mfma_i32_16x16x32_i8 v[144:147], a[34:35], v[98:99], v[144:147]// 000000017BC4: D3D70090 0E42C522
	v_mfma_i32_16x16x32_i8 v[144:147], a[36:37], v[100:101], v[144:147]// 000000017BCC: D3D70090 0E42C924
	v_mfma_i32_16x16x32_i8 v[144:147], a[38:39], v[102:103], v[144:147]// 000000017BD4: D3D70090 0E42CD26
	v_mfma_i32_16x16x32_i8 v[148:151], a[40:41], v[96:97], 0   // 000000017BDC: D3D70094 0A02C128
	v_mfma_i32_16x16x32_i8 v[148:151], a[42:43], v[98:99], v[148:151]// 000000017BE4: D3D70094 0E52C52A
	v_mfma_i32_16x16x32_i8 v[148:151], a[44:45], v[100:101], v[148:151]// 000000017BEC: D3D70094 0E52C92C
	v_mfma_i32_16x16x32_i8 v[148:151], a[46:47], v[102:103], v[148:151]// 000000017BF4: D3D70094 0E52CD2E
	v_mfma_i32_16x16x32_i8 v[152:155], a[48:49], v[96:97], 0   // 000000017BFC: D3D70098 0A02C130
	v_mfma_i32_16x16x32_i8 v[152:155], a[50:51], v[98:99], v[152:155]// 000000017C04: D3D70098 0E62C532
	v_mfma_i32_16x16x32_i8 v[152:155], a[52:53], v[100:101], v[152:155]// 000000017C0C: D3D70098 0E62C934
	v_mfma_i32_16x16x32_i8 v[152:155], a[54:55], v[102:103], v[152:155]// 000000017C14: D3D70098 0E62CD36
	v_mfma_i32_16x16x32_i8 v[156:159], a[56:57], v[96:97], 0   // 000000017C1C: D3D7009C 0A02C138
	v_mfma_i32_16x16x32_i8 v[156:159], a[58:59], v[98:99], v[156:159]// 000000017C24: D3D7009C 0E72C53A
	v_mfma_i32_16x16x32_i8 v[156:159], a[60:61], v[100:101], v[156:159]// 000000017C2C: D3D7009C 0E72C93C
	v_mfma_i32_16x16x32_i8 v[156:159], a[62:63], v[102:103], v[156:159]// 000000017C34: D3D7009C 0E72CD3E
	buffer_load_dword v42, v2, s[32:35], 0 offen               // 000000017C3C: E0501000 80082A02
	v_mov_b32_dpp v64, v43 row_shr:4 row_mask:0xf bank_mask:0xf// 000000017C44: 7E8002FA FF01142B
	v_mov_b32_dpp v65, v43 row_shl:4 row_mask:0xf bank_mask:0xf// 000000017C4C: 7E8202FA FF01042B
	v_cndmask_b32_e64 v248, v43, v64, s[44:45]                 // 000000017C54: D10000F8 00B2812B
	v_cndmask_b32_e64 v249, v65, v43, s[44:45]                 // 000000017C5C: D10000F9 00B25741
	v_mov_b32_dpp v64, v248 row_shr:8 row_mask:0xf bank_mask:0xf// 000000017C64: 7E8002FA FF0118F8
	v_mov_b32_dpp v65, v248 row_shl:8 row_mask:0xf bank_mask:0xf// 000000017C6C: 7E8202FA FF0108F8
	v_mov_b32_dpp v66, v249 row_shr:8 row_mask:0xf bank_mask:0xf// 000000017C74: 7E8402FA FF0118F9
	v_mov_b32_dpp v67, v249 row_shl:8 row_mask:0xf bank_mask:0xf// 000000017C7C: 7E8602FA FF0108F9
	v_mov_b32_e32 v68, v248                                    // 000000017C84: 7E8803F8
	v_mov_b32_e32 v69, v249                                    // 000000017C88: 7E8A03F9
	v_cndmask_b32_e64 v248, v68, v64, s[42:43]                 // 000000017C8C: D10000F8 00AA8144
	v_cndmask_b32_e64 v250, v68, v65, s[78:79]                 // 000000017C94: D10000FA 013A8344
	v_cndmask_b32_e64 v249, v69, v66, s[42:43]                 // 000000017C9C: D10000F9 00AA8545
	v_cndmask_b32_e64 v251, v69, v67, s[78:79]                 // 000000017CA4: D10000FB 013A8745
	v_mov_b32_dpp v64, v58 row_shr:4 row_mask:0xf bank_mask:0xf// 000000017CAC: 7E8002FA FF01143A
	v_mov_b32_dpp v65, v58 row_shl:4 row_mask:0xf bank_mask:0xf// 000000017CB4: 7E8202FA FF01043A
	v_cndmask_b32_e64 v252, v58, v64, s[44:45]                 // 000000017CBC: D10000FC 00B2813A
	v_cndmask_b32_e64 v253, v65, v58, s[44:45]                 // 000000017CC4: D10000FD 00B27541
	v_mov_b32_dpp v64, v252 row_shr:8 row_mask:0xf bank_mask:0xf// 000000017CCC: 7E8002FA FF0118FC
	v_mov_b32_dpp v65, v252 row_shl:8 row_mask:0xf bank_mask:0xf// 000000017CD4: 7E8202FA FF0108FC
	v_mov_b32_dpp v66, v253 row_shr:8 row_mask:0xf bank_mask:0xf// 000000017CDC: 7E8402FA FF0118FD
	v_mov_b32_dpp v67, v253 row_shl:8 row_mask:0xf bank_mask:0xf// 000000017CE4: 7E8602FA FF0108FD
	v_mov_b32_e32 v68, v252                                    // 000000017CEC: 7E8803FC
	v_mov_b32_e32 v69, v253                                    // 000000017CF0: 7E8A03FD
	v_cndmask_b32_e64 v252, v68, v64, s[42:43]                 // 000000017CF4: D10000FC 00AA8144
	v_cndmask_b32_e64 v254, v68, v65, s[78:79]                 // 000000017CFC: D10000FE 013A8344
	v_cndmask_b32_e64 v253, v69, v66, s[42:43]                 // 000000017D04: D10000FD 00AA8545
	v_cndmask_b32_e64 v255, v69, v67, s[78:79]                 // 000000017D0C: D10000FF 013A8745
	buffer_load_dword v57, v55, s[36:39], 0 offen              // 000000017D14: E0501000 80093937
	v_cvt_f32_i32_e32 v112, v112                               // 000000017D1C: 7EE00B70
	v_cvt_f32_i32_e32 v113, v113                               // 000000017D20: 7EE20B71
	v_cvt_f32_i32_e32 v114, v114                               // 000000017D24: 7EE40B72
	v_cvt_f32_i32_e32 v115, v115                               // 000000017D28: 7EE60B73
	v_cvt_f32_i32_e32 v116, v116                               // 000000017D2C: 7EE80B74
	v_cvt_f32_i32_e32 v117, v117                               // 000000017D30: 7EEA0B75
	v_cvt_f32_i32_e32 v118, v118                               // 000000017D34: 7EEC0B76
	v_cvt_f32_i32_e32 v119, v119                               // 000000017D38: 7EEE0B77
	v_cvt_f32_i32_e32 v120, v120                               // 000000017D3C: 7EF00B78
	v_cvt_f32_i32_e32 v121, v121                               // 000000017D40: 7EF20B79
	v_cvt_f32_i32_e32 v122, v122                               // 000000017D44: 7EF40B7A
	v_cvt_f32_i32_e32 v123, v123                               // 000000017D48: 7EF60B7B
	v_cvt_f32_i32_e32 v124, v124                               // 000000017D4C: 7EF80B7C
	v_cvt_f32_i32_e32 v125, v125                               // 000000017D50: 7EFA0B7D
	v_cvt_f32_i32_e32 v126, v126                               // 000000017D54: 7EFC0B7E
	v_cvt_f32_i32_e32 v127, v127                               // 000000017D58: 7EFE0B7F
	v_mul_f32_e32 v112, v18, v112                              // 000000017D5C: 0AE0E112
	v_mul_f32_e32 v113, v18, v113                              // 000000017D60: 0AE2E312
	v_mul_f32_e32 v114, v18, v114                              // 000000017D64: 0AE4E512
	v_mul_f32_e32 v115, v18, v115                              // 000000017D68: 0AE6E712
	v_mul_f32_e32 v116, v18, v116                              // 000000017D6C: 0AE8E912
	v_mul_f32_e32 v117, v18, v117                              // 000000017D70: 0AEAEB12
	v_mul_f32_e32 v118, v18, v118                              // 000000017D74: 0AECED12
	v_mul_f32_e32 v119, v18, v119                              // 000000017D78: 0AEEEF12
	v_mul_f32_e32 v120, v18, v120                              // 000000017D7C: 0AF0F112
	v_mul_f32_e32 v121, v18, v121                              // 000000017D80: 0AF2F312
	v_mul_f32_e32 v122, v18, v122                              // 000000017D84: 0AF4F512
	v_mul_f32_e32 v123, v18, v123                              // 000000017D88: 0AF6F712
	v_mul_f32_e32 v124, v18, v124                              // 000000017D8C: 0AF8F912
	v_mul_f32_e32 v125, v18, v125                              // 000000017D90: 0AFAFB12
	v_mul_f32_e32 v126, v18, v126                              // 000000017D94: 0AFCFD12
	v_mul_f32_e32 v127, v18, v127                              // 000000017D98: 0AFEFF12
	buffer_load_dwordx4 a[16:19], v24, s[16:19], 0 offen       // 000000017D9C: E05C1000 80841018
	v_mul_f32_dpp v112, v248, v112 quad_perm:[0,0,0,0] row_mask:0xf bank_mask:0xf// 000000017DA4: 0AE0E0FA FF0000F8
	v_mul_f32_dpp v113, v248, v113 quad_perm:[1,1,1,1] row_mask:0xf bank_mask:0xf// 000000017DAC: 0AE2E2FA FF0055F8
	v_mul_f32_dpp v114, v248, v114 quad_perm:[2,2,2,2] row_mask:0xf bank_mask:0xf// 000000017DB4: 0AE4E4FA FF00AAF8
	v_mul_f32_dpp v115, v248, v115 quad_perm:[3,3,3,3] row_mask:0xf bank_mask:0xf// 000000017DBC: 0AE6E6FA FF00FFF8
	v_mul_f32_dpp v116, v249, v116 quad_perm:[0,0,0,0] row_mask:0xf bank_mask:0xf// 000000017DC4: 0AE8E8FA FF0000F9
	v_mul_f32_dpp v117, v249, v117 quad_perm:[1,1,1,1] row_mask:0xf bank_mask:0xf// 000000017DCC: 0AEAEAFA FF0055F9
	v_mul_f32_dpp v118, v249, v118 quad_perm:[2,2,2,2] row_mask:0xf bank_mask:0xf// 000000017DD4: 0AECECFA FF00AAF9
	v_mul_f32_dpp v119, v249, v119 quad_perm:[3,3,3,3] row_mask:0xf bank_mask:0xf// 000000017DDC: 0AEEEEFA FF00FFF9
	v_mul_f32_dpp v120, v250, v120 quad_perm:[0,0,0,0] row_mask:0xf bank_mask:0xf// 000000017DE4: 0AF0F0FA FF0000FA
	v_mul_f32_dpp v121, v250, v121 quad_perm:[1,1,1,1] row_mask:0xf bank_mask:0xf// 000000017DEC: 0AF2F2FA FF0055FA
	v_mul_f32_dpp v122, v250, v122 quad_perm:[2,2,2,2] row_mask:0xf bank_mask:0xf// 000000017DF4: 0AF4F4FA FF00AAFA
	v_mul_f32_dpp v123, v250, v123 quad_perm:[3,3,3,3] row_mask:0xf bank_mask:0xf// 000000017DFC: 0AF6F6FA FF00FFFA
	v_mul_f32_dpp v124, v251, v124 quad_perm:[0,0,0,0] row_mask:0xf bank_mask:0xf// 000000017E04: 0AF8F8FA FF0000FB
	v_mul_f32_dpp v125, v251, v125 quad_perm:[1,1,1,1] row_mask:0xf bank_mask:0xf// 000000017E0C: 0AFAFAFA FF0055FB
	v_mul_f32_dpp v126, v251, v126 quad_perm:[2,2,2,2] row_mask:0xf bank_mask:0xf// 000000017E14: 0AFCFCFA FF00AAFB
	v_mul_f32_dpp v127, v251, v127 quad_perm:[3,3,3,3] row_mask:0xf bank_mask:0xf// 000000017E1C: 0AFEFEFA FF00FFFB
	buffer_load_dwordx4 a[20:23], v24, s[16:19], 0 offen offset:1024// 000000017E24: E05C1400 80841418
	s_cmp_le_i32 s90, s89                                      // 000000017E2C: BF05595A
	s_cbranch_scc1 label_577E                                  // 000000017E30: BF850071
	v_mov_b32_e32 v66, 0xff800000                              // 000000017E34: 7E8402FF FF800000
	s_mov_b32 s60, s90                                         // 000000017E3C: BEBC005A
	s_add_u32 s61, s89, 0xff                                   // 000000017E40: 803DFF59 000000FF
	v_mov_b32_e32 v64, s61                                     // 000000017E48: 7E80023D
	v_lshrrev_b32_e32 v240, 4, v0                              // 000000017E4C: 21E00084
	v_mul_i32_i24_e32 v240, 4, v240                            // 000000017E50: 0DE1E084
	v_add_u32_e32 v240, s60, v240                              // 000000017E54: 69E1E03C
	s_mov_b32 s61, 0                                           // 000000017E58: BEBD0080
	s_mul_i32 s60, 16, s7                                      // 000000017E5C: 923C0790
	v_sub_u32_e64 v240, v240, s61                              // 000000017E60: D13500F0 00007BF0
	v_add_u32_e32 v240, s60, v240                              // 000000017E68: 69E1E03C
	v_add_u32_e32 v241, 1, v240                                // 000000017E6C: 69E3E081
	v_add_u32_e32 v242, 2, v240                                // 000000017E70: 69E5E082
	v_add_u32_e32 v243, 3, v240                                // 000000017E74: 69E7E083
	v_cmp_le_u32_e64 s[40:41], v240, v64                       // 000000017E78: D0CB0028 000281F0
	v_add_u32_e32 v240, 64, v240                               // 000000017E80: 69E1E0C0
	s_nop 0                                                    // 000000017E84: BF800000
	v_cndmask_b32_e64 v112, v66, v112, s[40:41]                // 000000017E88: D1000070 00A2E142
	v_cmp_le_u32_e64 s[40:41], v241, v64                       // 000000017E90: D0CB0028 000281F1
	v_add_u32_e32 v241, 64, v241                               // 000000017E98: 69E3E2C0
	s_nop 0                                                    // 000000017E9C: BF800000
	v_cndmask_b32_e64 v113, v66, v113, s[40:41]                // 000000017EA0: D1000071 00A2E342
	v_cmp_le_u32_e64 s[40:41], v242, v64                       // 000000017EA8: D0CB0028 000281F2
	v_add_u32_e32 v242, 64, v242                               // 000000017EB0: 69E5E4C0
	s_nop 0                                                    // 000000017EB4: BF800000
	v_cndmask_b32_e64 v114, v66, v114, s[40:41]                // 000000017EB8: D1000072 00A2E542
	v_cmp_le_u32_e64 s[40:41], v243, v64                       // 000000017EC0: D0CB0028 000281F3
	v_add_u32_e32 v243, 64, v243                               // 000000017EC8: 69E7E6C0
	s_nop 0                                                    // 000000017ECC: BF800000
	v_cndmask_b32_e64 v115, v66, v115, s[40:41]                // 000000017ED0: D1000073 00A2E742
	v_cmp_le_u32_e64 s[40:41], v240, v64                       // 000000017ED8: D0CB0028 000281F0
	v_add_u32_e32 v240, 64, v240                               // 000000017EE0: 69E1E0C0
	s_nop 0                                                    // 000000017EE4: BF800000
	v_cndmask_b32_e64 v116, v66, v116, s[40:41]                // 000000017EE8: D1000074 00A2E942
	v_cmp_le_u32_e64 s[40:41], v241, v64                       // 000000017EF0: D0CB0028 000281F1
	v_add_u32_e32 v241, 64, v241                               // 000000017EF8: 69E3E2C0
	s_nop 0                                                    // 000000017EFC: BF800000
	v_cndmask_b32_e64 v117, v66, v117, s[40:41]                // 000000017F00: D1000075 00A2EB42
	v_cmp_le_u32_e64 s[40:41], v242, v64                       // 000000017F08: D0CB0028 000281F2
	v_add_u32_e32 v242, 64, v242                               // 000000017F10: 69E5E4C0
	s_nop 0                                                    // 000000017F14: BF800000
	v_cndmask_b32_e64 v118, v66, v118, s[40:41]                // 000000017F18: D1000076 00A2ED42
	v_cmp_le_u32_e64 s[40:41], v243, v64                       // 000000017F20: D0CB0028 000281F3
	v_add_u32_e32 v243, 64, v243                               // 000000017F28: 69E7E6C0
	s_nop 0                                                    // 000000017F2C: BF800000
	v_cndmask_b32_e64 v119, v66, v119, s[40:41]                // 000000017F30: D1000077 00A2EF42
	v_cmp_le_u32_e64 s[40:41], v240, v64                       // 000000017F38: D0CB0028 000281F0
	v_add_u32_e32 v240, 64, v240                               // 000000017F40: 69E1E0C0
	s_nop 0                                                    // 000000017F44: BF800000
	v_cndmask_b32_e64 v120, v66, v120, s[40:41]                // 000000017F48: D1000078 00A2F142
	v_cmp_le_u32_e64 s[40:41], v241, v64                       // 000000017F50: D0CB0028 000281F1
	v_add_u32_e32 v241, 64, v241                               // 000000017F58: 69E3E2C0
	s_nop 0                                                    // 000000017F5C: BF800000
	v_cndmask_b32_e64 v121, v66, v121, s[40:41]                // 000000017F60: D1000079 00A2F342
	v_cmp_le_u32_e64 s[40:41], v242, v64                       // 000000017F68: D0CB0028 000281F2
	v_add_u32_e32 v242, 64, v242                               // 000000017F70: 69E5E4C0
	s_nop 0                                                    // 000000017F74: BF800000
	v_cndmask_b32_e64 v122, v66, v122, s[40:41]                // 000000017F78: D100007A 00A2F542
	v_cmp_le_u32_e64 s[40:41], v243, v64                       // 000000017F80: D0CB0028 000281F3
	v_add_u32_e32 v243, 64, v243                               // 000000017F88: 69E7E6C0
	s_nop 0                                                    // 000000017F8C: BF800000
	v_cndmask_b32_e64 v123, v66, v123, s[40:41]                // 000000017F90: D100007B 00A2F742
	v_cmp_le_u32_e64 s[40:41], v240, v64                       // 000000017F98: D0CB0028 000281F0
	v_add_u32_e32 v240, 64, v240                               // 000000017FA0: 69E1E0C0
	s_nop 0                                                    // 000000017FA4: BF800000
	v_cndmask_b32_e64 v124, v66, v124, s[40:41]                // 000000017FA8: D100007C 00A2F942
	v_cmp_le_u32_e64 s[40:41], v241, v64                       // 000000017FB0: D0CB0028 000281F1
	v_add_u32_e32 v241, 64, v241                               // 000000017FB8: 69E3E2C0
	s_nop 0                                                    // 000000017FBC: BF800000
	v_cndmask_b32_e64 v125, v66, v125, s[40:41]                // 000000017FC0: D100007D 00A2FB42
	v_cmp_le_u32_e64 s[40:41], v242, v64                       // 000000017FC8: D0CB0028 000281F2
	v_add_u32_e32 v242, 64, v242                               // 000000017FD0: 69E5E4C0
	s_nop 0                                                    // 000000017FD4: BF800000
	v_cndmask_b32_e64 v126, v66, v126, s[40:41]                // 000000017FD8: D100007E 00A2FD42
	v_cmp_le_u32_e64 s[40:41], v243, v64                       // 000000017FE0: D0CB0028 000281F3
	v_add_u32_e32 v243, 64, v243                               // 000000017FE8: 69E7E6C0
	s_nop 0                                                    // 000000017FEC: BF800000
	v_cndmask_b32_e64 v127, v66, v127, s[40:41]                // 000000017FF0: D100007F 00A2FF42

0000000000017ff8 <label_577E>:
	v_mov_b32_e32 v48, v112                                    // 000000017FF8: 7E600370
	v_max3_f32 v48, v112, v113, v48                            // 000000017FFC: D1D30030 04C2E370
	v_max3_f32 v48, v114, v115, v48                            // 000000018004: D1D30030 04C2E772
	v_max3_f32 v48, v116, v117, v48                            // 00000001800C: D1D30030 04C2EB74
	v_max3_f32 v48, v118, v119, v48                            // 000000018014: D1D30030 04C2EF76
	v_max3_f32 v48, v120, v121, v48                            // 00000001801C: D1D30030 04C2F378
	v_max3_f32 v48, v122, v123, v48                            // 000000018024: D1D30030 04C2F77A
	v_max3_f32 v48, v124, v125, v48                            // 00000001802C: D1D30030 04C2FB7C
	v_max3_f32 v48, v126, v127, v48                            // 000000018034: D1D30030 04C2FF7E
	ds_write_b32 v8, v48 offset:16896                          // 00000001803C: D81A4200 00003008
	buffer_load_dwordx4 a[24:27], v25, s[16:19], 0 offen       // 000000018044: E05C1000 80841819
	v_mul_u32_u24_dpp v64, v16, v54 row_newbcast:1 row_mask:0xf bank_mask:0xf// 00000001804C: 10806CFA FF015110
	v_mul_u32_u24_dpp v65, v16, v54 row_newbcast:5 row_mask:0xf bank_mask:0xf// 000000018054: 10826CFA FF015510
	v_mul_u32_u24_dpp v66, v16, v54 row_newbcast:9 row_mask:0xf bank_mask:0xf// 00000001805C: 10846CFA FF015910
	v_mul_u32_u24_dpp v67, v16, v54 row_newbcast:13 row_mask:0xf bank_mask:0xf// 000000018064: 10866CFA FF015D10
	v_add_u32_e32 v30, v64, v6                                 // 00000001806C: 683C0D40
	v_add_u32_e32 v31, v65, v6                                 // 000000018070: 683E0D41
	v_add_u32_e32 v32, v66, v6                                 // 000000018074: 68400D42
	v_add_u32_e32 v33, v67, v6                                 // 000000018078: 68420D43
	v_mul_f32_e32 v208, v49, v208                              // 00000001807C: 0BA1A131
	v_mul_f32_e32 v209, v49, v209                              // 000000018080: 0BA3A331
	v_mul_f32_e32 v210, v49, v210                              // 000000018084: 0BA5A531
	v_mul_f32_e32 v211, v49, v211                              // 000000018088: 0BA7A731
	v_mul_f32_e32 v212, v49, v212                              // 00000001808C: 0BA9A931
	v_mul_f32_e32 v213, v49, v213                              // 000000018090: 0BABAB31
	v_mul_f32_e32 v214, v49, v214                              // 000000018094: 0BADAD31
	v_mul_f32_e32 v215, v49, v215                              // 000000018098: 0BAFAF31
	s_waitcnt lgkmcnt(0)                                       // 00000001809C: BF8CC07F
	s_barrier                                                  // 0000000180A0: BF8A0000
	ds_read_b32 v64, v7 offset:16896                           // 0000000180A4: D86C4200 40000007
	ds_read_b32 v65, v7 offset:16960                           // 0000000180AC: D86C4240 41000007
	ds_read_b32 v66, v7 offset:17024                           // 0000000180B4: D86C4280 42000007
	ds_read_b32 v67, v7 offset:17088                           // 0000000180BC: D86C42C0 43000007
	ds_read_b32 v68, v7 offset:17152                           // 0000000180C4: D86C4300 44000007
	ds_read_b32 v69, v7 offset:17216                           // 0000000180CC: D86C4340 45000007
	ds_read_b32 v70, v7 offset:17280                           // 0000000180D4: D86C4380 46000007
	ds_read_b32 v71, v7 offset:17344                           // 0000000180DC: D86C43C0 47000007
	ds_read_b32 v72, v7 offset:17408                           // 0000000180E4: D86C4400 48000007
	ds_read_b32 v73, v7 offset:17472                           // 0000000180EC: D86C4440 49000007
	ds_read_b32 v74, v7 offset:17536                           // 0000000180F4: D86C4480 4A000007
	ds_read_b32 v75, v7 offset:17600                           // 0000000180FC: D86C44C0 4B000007
	ds_read_b32 v76, v7 offset:17664                           // 000000018104: D86C4500 4C000007
	ds_read_b32 v77, v7 offset:17728                           // 00000001810C: D86C4540 4D000007
	ds_read_b32 v78, v7 offset:17792                           // 000000018114: D86C4580 4E000007
	ds_read_b32 v79, v7 offset:17856                           // 00000001811C: D86C45C0 4F000007
	buffer_load_dwordx4 a[28:31], v25, s[16:19], 0 offen offset:1024// 000000018124: E05C1400 80841C19
	v_cvt_f32_i32_e32 v176, v176                               // 00000001812C: 7F600BB0
	v_cvt_f32_i32_e32 v177, v177                               // 000000018130: 7F620BB1
	v_cvt_f32_i32_e32 v178, v178                               // 000000018134: 7F640BB2
	v_cvt_f32_i32_e32 v179, v179                               // 000000018138: 7F660BB3
	v_cvt_f32_i32_e32 v180, v180                               // 00000001813C: 7F680BB4
	v_cvt_f32_i32_e32 v181, v181                               // 000000018140: 7F6A0BB5
	v_cvt_f32_i32_e32 v182, v182                               // 000000018144: 7F6C0BB6
	v_cvt_f32_i32_e32 v183, v183                               // 000000018148: 7F6E0BB7
	v_mul_f32_e32 v176, v44, v176                              // 00000001814C: 0B61612C
	v_mul_f32_e32 v177, v44, v177                              // 000000018150: 0B63632C
	v_mul_f32_e32 v178, v44, v178                              // 000000018154: 0B65652C
	v_mul_f32_e32 v179, v44, v179                              // 000000018158: 0B67672C
	v_mul_f32_e32 v180, v44, v180                              // 00000001815C: 0B69692C
	v_mul_f32_e32 v181, v44, v181                              // 000000018160: 0B6B6B2C
	v_mul_f32_e32 v182, v44, v182                              // 000000018164: 0B6D6D2C
	v_mul_f32_e32 v183, v44, v183                              // 000000018168: 0B6F6F2C
	s_waitcnt lgkmcnt(0)                                       // 00000001816C: BF8CC07F
	v_max3_f32 v48, v64, v65, v48                              // 000000018170: D1D30030 04C28340
	v_max3_f32 v48, v66, v67, v48                              // 000000018178: D1D30030 04C28742
	v_max3_f32 v48, v68, v69, v48                              // 000000018180: D1D30030 04C28B44
	v_max3_f32 v48, v70, v71, v48                              // 000000018188: D1D30030 04C28F46
	v_max3_f32 v48, v72, v73, v48                              // 000000018190: D1D30030 04C29348
	v_max3_f32 v48, v74, v75, v48                              // 000000018198: D1D30030 04C2974A
	v_max3_f32 v48, v76, v77, v48                              // 0000000181A0: D1D30030 04C29B4C
	v_max3_f32 v48, v78, v79, v48                              // 0000000181A8: D1D30030 04C29F4E
	buffer_load_dwordx4 a[64:67], v30, s[20:23], 0 offen       // 0000000181B0: E05C1000 8085401E
	v_mov_b32_e32 v64, 0xff800000                              // 0000000181B8: 7E8002FF FF800000
	v_cmp_eq_u32_e64 s[40:41], v64, v11                        // 0000000181C0: D0CA0028 00021740
	s_nop 1                                                    // 0000000181C8: BF800001
	v_max_f32_e32 v15, v48, v11                                // 0000000181CC: 161E1730
	v_mul_f32_e32 v53, s64, v15                                // 0000000181D0: 0A6A1E40
	v_fma_f32 v112, v112, s64, -v53                            // 0000000181D4: D1CB0070 84D48170
	v_fma_f32 v113, v113, s64, -v53                            // 0000000181DC: D1CB0071 84D48171
	v_fma_f32 v114, v114, s64, -v53                            // 0000000181E4: D1CB0072 84D48172
	v_fma_f32 v115, v115, s64, -v53                            // 0000000181EC: D1CB0073 84D48173
	v_fma_f32 v116, v116, s64, -v53                            // 0000000181F4: D1CB0074 84D48174
	v_fma_f32 v117, v117, s64, -v53                            // 0000000181FC: D1CB0075 84D48175
	v_fma_f32 v118, v118, s64, -v53                            // 000000018204: D1CB0076 84D48176
	v_fma_f32 v119, v119, s64, -v53                            // 00000001820C: D1CB0077 84D48177
	v_fma_f32 v120, v120, s64, -v53                            // 000000018214: D1CB0078 84D48178
	v_fma_f32 v121, v121, s64, -v53                            // 00000001821C: D1CB0079 84D48179
	v_fma_f32 v122, v122, s64, -v53                            // 000000018224: D1CB007A 84D4817A
	v_fma_f32 v123, v123, s64, -v53                            // 00000001822C: D1CB007B 84D4817B
	v_fma_f32 v124, v124, s64, -v53                            // 000000018234: D1CB007C 84D4817C
	v_fma_f32 v125, v125, s64, -v53                            // 00000001823C: D1CB007D 84D4817D
	v_fma_f32 v126, v126, s64, -v53                            // 000000018244: D1CB007E 84D4817E
	v_fma_f32 v127, v127, s64, -v53                            // 00000001824C: D1CB007F 84D4817F
	buffer_load_dwordx4 a[68:71], v31, s[20:23], 0 offen       // 000000018254: E05C1000 8085441F
	v_exp_f32_e32 v112, v112                                   // 00000001825C: 7EE04170
	v_exp_f32_e32 v113, v113                                   // 000000018260: 7EE24171
	v_exp_f32_e32 v114, v114                                   // 000000018264: 7EE44172
	v_exp_f32_e32 v115, v115                                   // 000000018268: 7EE64173
	v_exp_f32_e32 v116, v116                                   // 00000001826C: 7EE84174
	v_exp_f32_e32 v117, v117                                   // 000000018270: 7EEA4175
	v_exp_f32_e32 v118, v118                                   // 000000018274: 7EEC4176
	v_exp_f32_e32 v119, v119                                   // 000000018278: 7EEE4177
	v_exp_f32_e32 v120, v120                                   // 00000001827C: 7EF04178
	v_exp_f32_e32 v121, v121                                   // 000000018280: 7EF24179
	v_exp_f32_e32 v122, v122                                   // 000000018284: 7EF4417A
	v_exp_f32_e32 v123, v123                                   // 000000018288: 7EF6417B
	v_exp_f32_e32 v124, v124                                   // 00000001828C: 7EF8417C
	v_exp_f32_e32 v125, v125                                   // 000000018290: 7EFA417D
	v_exp_f32_e32 v126, v126                                   // 000000018294: 7EFC417E
	v_exp_f32_e32 v127, v127                                   // 000000018298: 7EFE417F
	buffer_load_dwordx4 a[72:75], v32, s[20:23], 0 offen       // 00000001829C: E05C1000 80854820
	v_mul_f32_dpp v240, v252, v112 quad_perm:[0,0,0,0] row_mask:0xf bank_mask:0xf// 0000000182A4: 0BE0E0FA FF0000FC
	v_mul_f32_dpp v241, v252, v113 quad_perm:[1,1,1,1] row_mask:0xf bank_mask:0xf// 0000000182AC: 0BE2E2FA FF0055FC
	v_mul_f32_dpp v242, v252, v114 quad_perm:[2,2,2,2] row_mask:0xf bank_mask:0xf// 0000000182B4: 0BE4E4FA FF00AAFC
	v_mul_f32_dpp v243, v252, v115 quad_perm:[3,3,3,3] row_mask:0xf bank_mask:0xf// 0000000182BC: 0BE6E6FA FF00FFFC
	v_mul_f32_dpp v244, v253, v116 quad_perm:[0,0,0,0] row_mask:0xf bank_mask:0xf// 0000000182C4: 0BE8E8FA FF0000FD
	v_mul_f32_dpp v245, v253, v117 quad_perm:[1,1,1,1] row_mask:0xf bank_mask:0xf// 0000000182CC: 0BEAEAFA FF0055FD
	v_mul_f32_dpp v246, v253, v118 quad_perm:[2,2,2,2] row_mask:0xf bank_mask:0xf// 0000000182D4: 0BECECFA FF00AAFD
	v_mul_f32_dpp v247, v253, v119 quad_perm:[3,3,3,3] row_mask:0xf bank_mask:0xf// 0000000182DC: 0BEEEEFA FF00FFFD
	v_mul_f32_dpp v248, v254, v120 quad_perm:[0,0,0,0] row_mask:0xf bank_mask:0xf// 0000000182E4: 0BF0F0FA FF0000FE
	v_mul_f32_dpp v249, v254, v121 quad_perm:[1,1,1,1] row_mask:0xf bank_mask:0xf// 0000000182EC: 0BF2F2FA FF0055FE
	v_mul_f32_dpp v250, v254, v122 quad_perm:[2,2,2,2] row_mask:0xf bank_mask:0xf// 0000000182F4: 0BF4F4FA FF00AAFE
	v_mul_f32_dpp v251, v254, v123 quad_perm:[3,3,3,3] row_mask:0xf bank_mask:0xf// 0000000182FC: 0BF6F6FA FF00FFFE
	v_mul_f32_dpp v252, v255, v124 quad_perm:[0,0,0,0] row_mask:0xf bank_mask:0xf// 000000018304: 0BF8F8FA FF0000FF
	v_mul_f32_dpp v253, v255, v125 quad_perm:[1,1,1,1] row_mask:0xf bank_mask:0xf// 00000001830C: 0BFAFAFA FF0055FF
	v_mul_f32_dpp v254, v255, v126 quad_perm:[2,2,2,2] row_mask:0xf bank_mask:0xf// 000000018314: 0BFCFCFA FF00AAFF
	v_mul_f32_dpp v255, v255, v127 quad_perm:[3,3,3,3] row_mask:0xf bank_mask:0xf// 00000001831C: 0BFEFEFA FF00FFFF
	v_mov_b32_e32 v48, 0x358637bd                              // 000000018324: 7E6002FF 358637BD
	v_max3_f32 v48, |v240|, |v241|, v48                        // 00000001832C: D1D30330 04C3E3F0
	v_max3_f32 v48, |v242|, |v243|, v48                        // 000000018334: D1D30330 04C3E7F2
	v_max3_f32 v48, |v244|, |v245|, v48                        // 00000001833C: D1D30330 04C3EBF4
	v_max3_f32 v48, |v246|, |v247|, v48                        // 000000018344: D1D30330 04C3EFF6
	v_max3_f32 v48, |v248|, |v249|, v48                        // 00000001834C: D1D30330 04C3F3F8
	v_max3_f32 v48, |v250|, |v251|, v48                        // 000000018354: D1D30330 04C3F7FA
	v_max3_f32 v48, |v252|, |v253|, v48                        // 00000001835C: D1D30330 04C3FBFC
	v_max3_f32 v48, |v254|, |v255|, v48                        // 000000018364: D1D30330 04C3FFFE
	buffer_load_dwordx4 a[76:79], v33, s[20:23], 0 offen       // 00000001836C: E05C1000 80854C21
	ds_write_b32 v8, v48 offset:20992                          // 000000018374: D81A5200 00003008
	v_sub_f32_e32 v49, v11, v15                                // 00000001837C: 04621F0B
	v_cndmask_b32_e64 v49, v49, 0, s[40:41]                    // 000000018380: D1000031 00A10131
	v_mov_b32_e32 v11, v15                                     // 000000018388: 7E16030F
	v_mul_f32_e32 v49, s64, v49                                // 00000001838C: 0A626240
	v_exp_f32_e32 v49, v49                                     // 000000018390: 7E624131
	s_waitcnt lgkmcnt(0)                                       // 000000018394: BF8CC07F
	s_barrier                                                  // 000000018398: BF8A0000
	ds_read_b32 v64, v7 offset:20992                           // 00000001839C: D86C5200 40000007
	ds_read_b32 v65, v7 offset:21056                           // 0000000183A4: D86C5240 41000007
	ds_read_b32 v66, v7 offset:21120                           // 0000000183AC: D86C5280 42000007
	ds_read_b32 v67, v7 offset:21184                           // 0000000183B4: D86C52C0 43000007
	ds_read_b32 v68, v7 offset:21248                           // 0000000183BC: D86C5300 44000007
	ds_read_b32 v69, v7 offset:21312                           // 0000000183C4: D86C5340 45000007
	ds_read_b32 v70, v7 offset:21376                           // 0000000183CC: D86C5380 46000007
	ds_read_b32 v71, v7 offset:21440                           // 0000000183D4: D86C53C0 47000007
	ds_read_b32 v72, v7 offset:21504                           // 0000000183DC: D86C5400 48000007
	ds_read_b32 v73, v7 offset:21568                           // 0000000183E4: D86C5440 49000007
	ds_read_b32 v74, v7 offset:21632                           // 0000000183EC: D86C5480 4A000007
	ds_read_b32 v75, v7 offset:21696                           // 0000000183F4: D86C54C0 4B000007
	ds_read_b32 v76, v7 offset:21760                           // 0000000183FC: D86C5500 4C000007
	ds_read_b32 v77, v7 offset:21824                           // 000000018404: D86C5540 4D000007
	ds_read_b32 v78, v7 offset:21888                           // 00000001840C: D86C5580 4E000007
	ds_read_b32 v79, v7 offset:21952                           // 000000018414: D86C55C0 4F000007
	v_mul_f32_e32 v38, v49, v38                                // 00000001841C: 0A4C4D31
	v_mov_b32_e32 v15, v112                                    // 000000018420: 7E1E0370
	v_add_f32_e32 v15, v113, v15                               // 000000018424: 021E1F71
	v_add_f32_e32 v15, v114, v15                               // 000000018428: 021E1F72
	v_add_f32_e32 v15, v115, v15                               // 00000001842C: 021E1F73
	v_add_f32_e32 v15, v116, v15                               // 000000018430: 021E1F74
	v_add_f32_e32 v15, v117, v15                               // 000000018434: 021E1F75
	v_add_f32_e32 v15, v118, v15                               // 000000018438: 021E1F76
	v_add_f32_e32 v15, v119, v15                               // 00000001843C: 021E1F77
	v_add_f32_e32 v15, v120, v15                               // 000000018440: 021E1F78
	v_add_f32_e32 v15, v121, v15                               // 000000018444: 021E1F79
	v_add_f32_e32 v15, v122, v15                               // 000000018448: 021E1F7A
	v_add_f32_e32 v15, v123, v15                               // 00000001844C: 021E1F7B
	v_add_f32_e32 v15, v124, v15                               // 000000018450: 021E1F7C
	v_add_f32_e32 v15, v125, v15                               // 000000018454: 021E1F7D
	v_add_f32_e32 v15, v126, v15                               // 000000018458: 021E1F7E
	v_add_f32_e32 v15, v127, v15                               // 00000001845C: 021E1F7F
	v_add_f32_e32 v38, v15, v38                                // 000000018460: 024C4D0F
	s_waitcnt lgkmcnt(0)                                       // 000000018464: BF8CC07F
	v_max3_f32 v48, |v64|, |v65|, v48                          // 000000018468: D1D30330 04C28340
	v_max3_f32 v48, |v66|, |v67|, v48                          // 000000018470: D1D30330 04C28742
	v_max3_f32 v48, |v68|, |v69|, v48                          // 000000018478: D1D30330 04C28B44
	v_max3_f32 v48, |v70|, |v71|, v48                          // 000000018480: D1D30330 04C28F46
	v_max3_f32 v48, |v72|, |v73|, v48                          // 000000018488: D1D30330 04C29348
	v_max3_f32 v48, |v74|, |v75|, v48                          // 000000018490: D1D30330 04C2974A
	v_max3_f32 v48, |v76|, |v77|, v48                          // 000000018498: D1D30330 04C29B4C
	v_max3_f32 v48, |v78|, |v79|, v48                          // 0000000184A0: D1D30330 04C29F4E
	s_nop 2                                                    // 0000000184A8: BF800002
	v_rcp_f32_e32 v48, v48                                     // 0000000184AC: 7E604530
	s_nop 1                                                    // 0000000184B0: BF800001
	v_mul_f32_e32 v48, 0x42fe0000, v48                         // 0000000184B4: 0A6060FF 42FE0000
	v_mul_f32_e32 v112, v48, v240                              // 0000000184BC: 0AE1E130
	v_mul_f32_e32 v113, v48, v241                              // 0000000184C0: 0AE3E330
	v_mul_f32_e32 v114, v48, v242                              // 0000000184C4: 0AE5E530
	v_mul_f32_e32 v115, v48, v243                              // 0000000184C8: 0AE7E730
	v_mul_f32_e32 v116, v48, v244                              // 0000000184CC: 0AE9E930
	v_mul_f32_e32 v117, v48, v245                              // 0000000184D0: 0AEBEB30
	v_mul_f32_e32 v118, v48, v246                              // 0000000184D4: 0AEDED30
	v_mul_f32_e32 v119, v48, v247                              // 0000000184D8: 0AEFEF30
	v_mul_f32_e32 v120, v48, v248                              // 0000000184DC: 0AF1F130
	v_mul_f32_e32 v121, v48, v249                              // 0000000184E0: 0AF3F330
	v_mul_f32_e32 v122, v48, v250                              // 0000000184E4: 0AF5F530
	v_mul_f32_e32 v123, v48, v251                              // 0000000184E8: 0AF7F730
	v_mul_f32_e32 v124, v48, v252                              // 0000000184EC: 0AF9F930
	v_mul_f32_e32 v125, v48, v253                              // 0000000184F0: 0AFBFB30
	v_mul_f32_e32 v126, v48, v254                              // 0000000184F4: 0AFDFD30
	v_mul_f32_e32 v127, v48, v255                              // 0000000184F8: 0AFFFF30
	v_cvt_i32_f32_e32 v112, v112                               // 0000000184FC: 7EE01170
	v_cvt_i32_f32_e32 v113, v113                               // 000000018500: 7EE21171
	v_cvt_i32_f32_e32 v114, v114                               // 000000018504: 7EE41172
	v_cvt_i32_f32_e32 v115, v115                               // 000000018508: 7EE61173
	v_cvt_i32_f32_e32 v116, v116                               // 00000001850C: 7EE81174
	v_cvt_i32_f32_e32 v117, v117                               // 000000018510: 7EEA1175
	v_cvt_i32_f32_e32 v118, v118                               // 000000018514: 7EEC1176
	v_cvt_i32_f32_e32 v119, v119                               // 000000018518: 7EEE1177
	v_cvt_i32_f32_e32 v120, v120                               // 00000001851C: 7EF01178
	v_cvt_i32_f32_e32 v121, v121                               // 000000018520: 7EF21179
	v_cvt_i32_f32_e32 v122, v122                               // 000000018524: 7EF4117A
	v_cvt_i32_f32_e32 v123, v123                               // 000000018528: 7EF6117B
	v_cvt_i32_f32_e32 v124, v124                               // 00000001852C: 7EF8117C
	v_cvt_i32_f32_e32 v125, v125                               // 000000018530: 7EFA117D
	v_cvt_i32_f32_e32 v126, v126                               // 000000018534: 7EFC117E
	v_cvt_i32_f32_e32 v127, v127                               // 000000018538: 7EFE117F
	v_perm_b32 v112, v113, v112, s53                           // 00000001853C: D1ED0070 00D6E171
	v_perm_b32 v112, v114, v112, s54                           // 000000018544: D1ED0070 00DAE172
	v_perm_b32 v112, v115, v112, s55                           // 00000001854C: D1ED0070 00DEE173
	v_perm_b32 v113, v117, v116, s53                           // 000000018554: D1ED0071 00D6E975
	v_perm_b32 v113, v118, v113, s54                           // 00000001855C: D1ED0071 00DAE376
	v_perm_b32 v113, v119, v113, s55                           // 000000018564: D1ED0071 00DEE377
	v_perm_b32 v114, v121, v120, s53                           // 00000001856C: D1ED0072 00D6F179
	v_perm_b32 v114, v122, v114, s54                           // 000000018574: D1ED0072 00DAE57A
	v_perm_b32 v114, v123, v114, s55                           // 00000001857C: D1ED0072 00DEE57B
	v_perm_b32 v115, v125, v124, s53                           // 000000018584: D1ED0073 00D6F97D
	v_perm_b32 v115, v126, v115, s54                           // 00000001858C: D1ED0073 00DAE77E
	v_perm_b32 v115, v127, v115, s55                           // 000000018594: D1ED0073 00DEE77F
	ds_write_b32 v10, v112 offset:25088                        // 00000001859C: D81A6200 0000700A
	ds_write_b32 v10, v113 offset:26112                        // 0000000185A4: D81A6600 0000710A
	ds_write_b32 v10, v114 offset:27136                        // 0000000185AC: D81A6A00 0000720A
	ds_write_b32 v10, v115 offset:28160                        // 0000000185B4: D81A6E00 0000730A
	v_add_f32_e32 v208, v208, v176                             // 0000000185BC: 03A161D0
	v_add_f32_e32 v209, v209, v177                             // 0000000185C0: 03A363D1
	v_add_f32_e32 v210, v210, v178                             // 0000000185C4: 03A565D2
	v_add_f32_e32 v211, v211, v179                             // 0000000185C8: 03A767D3
	v_add_f32_e32 v212, v212, v180                             // 0000000185CC: 03A969D4
	v_add_f32_e32 v213, v213, v181                             // 0000000185D0: 03AB6BD5
	v_add_f32_e32 v214, v214, v182                             // 0000000185D4: 03AD6DD6
	v_add_f32_e32 v215, v215, v183                             // 0000000185D8: 03AF6FD7
	v_rcp_f32_e32 v44, v48                                     // 0000000185DC: 7E584530
	s_waitcnt lgkmcnt(0)                                       // 0000000185E0: BF8CC07F
	s_barrier                                                  // 0000000185E4: BF8A0000
	ds_read_b64 v[112:113], v9 offset:25088                    // 0000000185E8: D8EC6200 70000009
	ds_read_b64 v[114:115], v9 offset:25216                    // 0000000185F0: D8EC6280 72000009
	ds_read_b64 v[116:117], v9 offset:26112                    // 0000000185F8: D8EC6600 74000009
	ds_read_b64 v[118:119], v9 offset:26240                    // 000000018600: D8EC6680 76000009
	ds_read_b64 v[120:121], v9 offset:27136                    // 000000018608: D8EC6A00 78000009
	ds_read_b64 v[122:123], v9 offset:27264                    // 000000018610: D8EC6A80 7A000009
	ds_read_b64 v[124:125], v9 offset:28160                    // 000000018618: D8EC6E00 7C000009
	ds_read_b64 v[126:127], v9 offset:28288                    // 000000018620: D8EC6E80 7E000009
	v_mov_b32_dpp v64, v43 row_shr:4 row_mask:0xf bank_mask:0xf// 000000018628: 7E8002FA FF01142B
	v_mov_b32_dpp v65, v43 row_shl:4 row_mask:0xf bank_mask:0xf// 000000018630: 7E8202FA FF01042B
	v_cndmask_b32_e64 v248, v43, v64, s[44:45]                 // 000000018638: D10000F8 00B2812B
	v_cndmask_b32_e64 v249, v65, v43, s[44:45]                 // 000000018640: D10000F9 00B25741
	v_mov_b32_dpp v64, v248 row_shr:8 row_mask:0xf bank_mask:0xf// 000000018648: 7E8002FA FF0118F8
	v_mov_b32_dpp v65, v248 row_shl:8 row_mask:0xf bank_mask:0xf// 000000018650: 7E8202FA FF0108F8
	v_mov_b32_dpp v66, v249 row_shr:8 row_mask:0xf bank_mask:0xf// 000000018658: 7E8402FA FF0118F9
	v_mov_b32_dpp v67, v249 row_shl:8 row_mask:0xf bank_mask:0xf// 000000018660: 7E8602FA FF0108F9
	v_mov_b32_e32 v68, v248                                    // 000000018668: 7E8803F8
	v_mov_b32_e32 v69, v249                                    // 00000001866C: 7E8A03F9
	v_cndmask_b32_e64 v248, v68, v64, s[42:43]                 // 000000018670: D10000F8 00AA8144
	v_cndmask_b32_e64 v250, v68, v65, s[78:79]                 // 000000018678: D10000FA 013A8344
	v_cndmask_b32_e64 v249, v69, v66, s[42:43]                 // 000000018680: D10000F9 00AA8545
	v_cndmask_b32_e64 v251, v69, v67, s[78:79]                 // 000000018688: D10000FB 013A8745
	v_mov_b32_dpp v64, v58 row_shr:4 row_mask:0xf bank_mask:0xf// 000000018690: 7E8002FA FF01143A
	v_mov_b32_dpp v65, v58 row_shl:4 row_mask:0xf bank_mask:0xf// 000000018698: 7E8202FA FF01043A
	v_cndmask_b32_e64 v252, v58, v64, s[44:45]                 // 0000000186A0: D10000FC 00B2813A
	v_cndmask_b32_e64 v253, v65, v58, s[44:45]                 // 0000000186A8: D10000FD 00B27541
	v_mov_b32_dpp v64, v252 row_shr:8 row_mask:0xf bank_mask:0xf// 0000000186B0: 7E8002FA FF0118FC
	v_mov_b32_dpp v65, v252 row_shl:8 row_mask:0xf bank_mask:0xf// 0000000186B8: 7E8202FA FF0108FC
	v_mov_b32_dpp v66, v253 row_shr:8 row_mask:0xf bank_mask:0xf// 0000000186C0: 7E8402FA FF0118FD
	v_mov_b32_dpp v67, v253 row_shl:8 row_mask:0xf bank_mask:0xf// 0000000186C8: 7E8602FA FF0108FD
	v_mov_b32_e32 v68, v252                                    // 0000000186D0: 7E8803FC
	v_mov_b32_e32 v69, v253                                    // 0000000186D4: 7E8A03FD
	v_cndmask_b32_e64 v252, v68, v64, s[42:43]                 // 0000000186D8: D10000FC 00AA8144
	v_cndmask_b32_e64 v254, v68, v65, s[78:79]                 // 0000000186E0: D10000FE 013A8344
	v_cndmask_b32_e64 v253, v69, v66, s[42:43]                 // 0000000186E8: D10000FD 00AA8545
	v_cndmask_b32_e64 v255, v69, v67, s[78:79]                 // 0000000186F0: D10000FF 013A8745
	v_cvt_f32_i32_e32 v128, v128                               // 0000000186F8: 7F000B80
	v_cvt_f32_i32_e32 v129, v129                               // 0000000186FC: 7F020B81
	v_cvt_f32_i32_e32 v130, v130                               // 000000018700: 7F040B82
	v_cvt_f32_i32_e32 v131, v131                               // 000000018704: 7F060B83
	v_cvt_f32_i32_e32 v132, v132                               // 000000018708: 7F080B84
	v_cvt_f32_i32_e32 v133, v133                               // 00000001870C: 7F0A0B85
	v_cvt_f32_i32_e32 v134, v134                               // 000000018710: 7F0C0B86
	v_cvt_f32_i32_e32 v135, v135                               // 000000018714: 7F0E0B87
	v_cvt_f32_i32_e32 v136, v136                               // 000000018718: 7F100B88
	v_cvt_f32_i32_e32 v137, v137                               // 00000001871C: 7F120B89
	v_cvt_f32_i32_e32 v138, v138                               // 000000018720: 7F140B8A
	v_cvt_f32_i32_e32 v139, v139                               // 000000018724: 7F160B8B
	v_cvt_f32_i32_e32 v140, v140                               // 000000018728: 7F180B8C
	v_cvt_f32_i32_e32 v141, v141                               // 00000001872C: 7F1A0B8D
	v_cvt_f32_i32_e32 v142, v142                               // 000000018730: 7F1C0B8E
	v_cvt_f32_i32_e32 v143, v143                               // 000000018734: 7F1E0B8F
	v_mul_f32_e32 v128, v19, v128                              // 000000018738: 0B010113
	v_mul_f32_e32 v129, v19, v129                              // 00000001873C: 0B030313
	v_mul_f32_e32 v130, v19, v130                              // 000000018740: 0B050513
	v_mul_f32_e32 v131, v19, v131                              // 000000018744: 0B070713
	v_mul_f32_e32 v132, v19, v132                              // 000000018748: 0B090913
	v_mul_f32_e32 v133, v19, v133                              // 00000001874C: 0B0B0B13
	v_mul_f32_e32 v134, v19, v134                              // 000000018750: 0B0D0D13
	v_mul_f32_e32 v135, v19, v135                              // 000000018754: 0B0F0F13
	v_mul_f32_e32 v136, v19, v136                              // 000000018758: 0B111113
	v_mul_f32_e32 v137, v19, v137                              // 00000001875C: 0B131313
	v_mul_f32_e32 v138, v19, v138                              // 000000018760: 0B151513
	v_mul_f32_e32 v139, v19, v139                              // 000000018764: 0B171713
	v_mul_f32_e32 v140, v19, v140                              // 000000018768: 0B191913
	v_mul_f32_e32 v141, v19, v141                              // 00000001876C: 0B1B1B13
	v_mul_f32_e32 v142, v19, v142                              // 000000018770: 0B1D1D13
	v_mul_f32_e32 v143, v19, v143                              // 000000018774: 0B1F1F13
	v_mul_f32_dpp v128, v248, v128 quad_perm:[0,0,0,0] row_mask:0xf bank_mask:0xf// 000000018778: 0B0100FA FF0000F8
	v_mul_f32_dpp v129, v248, v129 quad_perm:[1,1,1,1] row_mask:0xf bank_mask:0xf// 000000018780: 0B0302FA FF0055F8
	v_mul_f32_dpp v130, v248, v130 quad_perm:[2,2,2,2] row_mask:0xf bank_mask:0xf// 000000018788: 0B0504FA FF00AAF8
	v_mul_f32_dpp v131, v248, v131 quad_perm:[3,3,3,3] row_mask:0xf bank_mask:0xf// 000000018790: 0B0706FA FF00FFF8
	v_mul_f32_dpp v132, v249, v132 quad_perm:[0,0,0,0] row_mask:0xf bank_mask:0xf// 000000018798: 0B0908FA FF0000F9
	v_mul_f32_dpp v133, v249, v133 quad_perm:[1,1,1,1] row_mask:0xf bank_mask:0xf// 0000000187A0: 0B0B0AFA FF0055F9
	v_mul_f32_dpp v134, v249, v134 quad_perm:[2,2,2,2] row_mask:0xf bank_mask:0xf// 0000000187A8: 0B0D0CFA FF00AAF9
	v_mul_f32_dpp v135, v249, v135 quad_perm:[3,3,3,3] row_mask:0xf bank_mask:0xf// 0000000187B0: 0B0F0EFA FF00FFF9
	v_mul_f32_dpp v136, v250, v136 quad_perm:[0,0,0,0] row_mask:0xf bank_mask:0xf// 0000000187B8: 0B1110FA FF0000FA
	v_mul_f32_dpp v137, v250, v137 quad_perm:[1,1,1,1] row_mask:0xf bank_mask:0xf// 0000000187C0: 0B1312FA FF0055FA
	v_mul_f32_dpp v138, v250, v138 quad_perm:[2,2,2,2] row_mask:0xf bank_mask:0xf// 0000000187C8: 0B1514FA FF00AAFA
	v_mul_f32_dpp v139, v250, v139 quad_perm:[3,3,3,3] row_mask:0xf bank_mask:0xf// 0000000187D0: 0B1716FA FF00FFFA
	v_mul_f32_dpp v140, v251, v140 quad_perm:[0,0,0,0] row_mask:0xf bank_mask:0xf// 0000000187D8: 0B1918FA FF0000FB
	v_mul_f32_dpp v141, v251, v141 quad_perm:[1,1,1,1] row_mask:0xf bank_mask:0xf// 0000000187E0: 0B1B1AFA FF0055FB
	v_mul_f32_dpp v142, v251, v142 quad_perm:[2,2,2,2] row_mask:0xf bank_mask:0xf// 0000000187E8: 0B1D1CFA FF00AAFB
	v_mul_f32_dpp v143, v251, v143 quad_perm:[3,3,3,3] row_mask:0xf bank_mask:0xf// 0000000187F0: 0B1F1EFA FF00FFFB
	s_cmp_le_i32 s90, s89                                      // 0000000187F8: BF05595A
	s_cbranch_scc1 label_59F1                                  // 0000000187FC: BF850071
	v_mov_b32_e32 v66, 0xff800000                              // 000000018800: 7E8402FF FF800000
	s_mov_b32 s60, s90                                         // 000000018808: BEBC005A
	s_add_u32 s61, s89, 0xff                                   // 00000001880C: 803DFF59 000000FF
	v_mov_b32_e32 v64, s61                                     // 000000018814: 7E80023D
	v_lshrrev_b32_e32 v240, 4, v0                              // 000000018818: 21E00084
	v_mul_i32_i24_e32 v240, 4, v240                            // 00000001881C: 0DE1E084
	v_add_u32_e32 v240, s60, v240                              // 000000018820: 69E1E03C
	s_mov_b32 s61, 1                                           // 000000018824: BEBD0081
	s_mul_i32 s60, 16, s7                                      // 000000018828: 923C0790
	v_sub_u32_e64 v240, v240, s61                              // 00000001882C: D13500F0 00007BF0
	v_add_u32_e32 v240, s60, v240                              // 000000018834: 69E1E03C
	v_add_u32_e32 v241, 1, v240                                // 000000018838: 69E3E081
	v_add_u32_e32 v242, 2, v240                                // 00000001883C: 69E5E082
	v_add_u32_e32 v243, 3, v240                                // 000000018840: 69E7E083
	v_cmp_le_u32_e64 s[40:41], v240, v64                       // 000000018844: D0CB0028 000281F0
	v_add_u32_e32 v240, 64, v240                               // 00000001884C: 69E1E0C0
	s_nop 0                                                    // 000000018850: BF800000
	v_cndmask_b32_e64 v128, v66, v128, s[40:41]                // 000000018854: D1000080 00A30142
	v_cmp_le_u32_e64 s[40:41], v241, v64                       // 00000001885C: D0CB0028 000281F1
	v_add_u32_e32 v241, 64, v241                               // 000000018864: 69E3E2C0
	s_nop 0                                                    // 000000018868: BF800000
	v_cndmask_b32_e64 v129, v66, v129, s[40:41]                // 00000001886C: D1000081 00A30342
	v_cmp_le_u32_e64 s[40:41], v242, v64                       // 000000018874: D0CB0028 000281F2
	v_add_u32_e32 v242, 64, v242                               // 00000001887C: 69E5E4C0
	s_nop 0                                                    // 000000018880: BF800000
	v_cndmask_b32_e64 v130, v66, v130, s[40:41]                // 000000018884: D1000082 00A30542
	v_cmp_le_u32_e64 s[40:41], v243, v64                       // 00000001888C: D0CB0028 000281F3
	v_add_u32_e32 v243, 64, v243                               // 000000018894: 69E7E6C0
	s_nop 0                                                    // 000000018898: BF800000
	v_cndmask_b32_e64 v131, v66, v131, s[40:41]                // 00000001889C: D1000083 00A30742
	v_cmp_le_u32_e64 s[40:41], v240, v64                       // 0000000188A4: D0CB0028 000281F0
	v_add_u32_e32 v240, 64, v240                               // 0000000188AC: 69E1E0C0
	s_nop 0                                                    // 0000000188B0: BF800000
	v_cndmask_b32_e64 v132, v66, v132, s[40:41]                // 0000000188B4: D1000084 00A30942
	v_cmp_le_u32_e64 s[40:41], v241, v64                       // 0000000188BC: D0CB0028 000281F1
	v_add_u32_e32 v241, 64, v241                               // 0000000188C4: 69E3E2C0
	s_nop 0                                                    // 0000000188C8: BF800000
	v_cndmask_b32_e64 v133, v66, v133, s[40:41]                // 0000000188CC: D1000085 00A30B42
	v_cmp_le_u32_e64 s[40:41], v242, v64                       // 0000000188D4: D0CB0028 000281F2
	v_add_u32_e32 v242, 64, v242                               // 0000000188DC: 69E5E4C0
	s_nop 0                                                    // 0000000188E0: BF800000
	v_cndmask_b32_e64 v134, v66, v134, s[40:41]                // 0000000188E4: D1000086 00A30D42
	v_cmp_le_u32_e64 s[40:41], v243, v64                       // 0000000188EC: D0CB0028 000281F3
	v_add_u32_e32 v243, 64, v243                               // 0000000188F4: 69E7E6C0
	s_nop 0                                                    // 0000000188F8: BF800000
	v_cndmask_b32_e64 v135, v66, v135, s[40:41]                // 0000000188FC: D1000087 00A30F42
	v_cmp_le_u32_e64 s[40:41], v240, v64                       // 000000018904: D0CB0028 000281F0
	v_add_u32_e32 v240, 64, v240                               // 00000001890C: 69E1E0C0
	s_nop 0                                                    // 000000018910: BF800000
	v_cndmask_b32_e64 v136, v66, v136, s[40:41]                // 000000018914: D1000088 00A31142
	v_cmp_le_u32_e64 s[40:41], v241, v64                       // 00000001891C: D0CB0028 000281F1
	v_add_u32_e32 v241, 64, v241                               // 000000018924: 69E3E2C0
	s_nop 0                                                    // 000000018928: BF800000
	v_cndmask_b32_e64 v137, v66, v137, s[40:41]                // 00000001892C: D1000089 00A31342
	v_cmp_le_u32_e64 s[40:41], v242, v64                       // 000000018934: D0CB0028 000281F2
	v_add_u32_e32 v242, 64, v242                               // 00000001893C: 69E5E4C0
	s_nop 0                                                    // 000000018940: BF800000
	v_cndmask_b32_e64 v138, v66, v138, s[40:41]                // 000000018944: D100008A 00A31542
	v_cmp_le_u32_e64 s[40:41], v243, v64                       // 00000001894C: D0CB0028 000281F3
	v_add_u32_e32 v243, 64, v243                               // 000000018954: 69E7E6C0
	s_nop 0                                                    // 000000018958: BF800000
	v_cndmask_b32_e64 v139, v66, v139, s[40:41]                // 00000001895C: D100008B 00A31742
	v_cmp_le_u32_e64 s[40:41], v240, v64                       // 000000018964: D0CB0028 000281F0
	v_add_u32_e32 v240, 64, v240                               // 00000001896C: 69E1E0C0
	s_nop 0                                                    // 000000018970: BF800000
	v_cndmask_b32_e64 v140, v66, v140, s[40:41]                // 000000018974: D100008C 00A31942
	v_cmp_le_u32_e64 s[40:41], v241, v64                       // 00000001897C: D0CB0028 000281F1
	v_add_u32_e32 v241, 64, v241                               // 000000018984: 69E3E2C0
	s_nop 0                                                    // 000000018988: BF800000
	v_cndmask_b32_e64 v141, v66, v141, s[40:41]                // 00000001898C: D100008D 00A31B42
	v_cmp_le_u32_e64 s[40:41], v242, v64                       // 000000018994: D0CB0028 000281F2
	v_add_u32_e32 v242, 64, v242                               // 00000001899C: 69E5E4C0
	s_nop 0                                                    // 0000000189A0: BF800000
	v_cndmask_b32_e64 v142, v66, v142, s[40:41]                // 0000000189A4: D100008E 00A31D42
	v_cmp_le_u32_e64 s[40:41], v243, v64                       // 0000000189AC: D0CB0028 000281F3
	v_add_u32_e32 v243, 64, v243                               // 0000000189B4: 69E7E6C0
	s_nop 0                                                    // 0000000189B8: BF800000
	v_cndmask_b32_e64 v143, v66, v143, s[40:41]                // 0000000189BC: D100008F 00A31F42

00000000000189c4 <label_59F1>:
	v_mov_b32_e32 v48, v128                                    // 0000000189C4: 7E600380
	v_max3_f32 v48, v128, v129, v48                            // 0000000189C8: D1D30030 04C30380
	v_max3_f32 v48, v130, v131, v48                            // 0000000189D0: D1D30030 04C30782
	v_max3_f32 v48, v132, v133, v48                            // 0000000189D8: D1D30030 04C30B84
	v_max3_f32 v48, v134, v135, v48                            // 0000000189E0: D1D30030 04C30F86
	v_max3_f32 v48, v136, v137, v48                            // 0000000189E8: D1D30030 04C31388
	v_max3_f32 v48, v138, v139, v48                            // 0000000189F0: D1D30030 04C3178A
	v_max3_f32 v48, v140, v141, v48                            // 0000000189F8: D1D30030 04C31B8C
	v_max3_f32 v48, v142, v143, v48                            // 000000018A00: D1D30030 04C31F8E
	ds_write_b32 v8, v48 offset:16896                          // 000000018A08: D81A4200 00003008
	v_mul_f32_e32 v216, v50, v216                              // 000000018A10: 0BB1B132
	v_mul_f32_e32 v217, v50, v217                              // 000000018A14: 0BB3B332
	v_mul_f32_e32 v218, v50, v218                              // 000000018A18: 0BB5B532
	v_mul_f32_e32 v219, v50, v219                              // 000000018A1C: 0BB7B732
	v_mul_f32_e32 v220, v50, v220                              // 000000018A20: 0BB9B932
	v_mul_f32_e32 v221, v50, v221                              // 000000018A24: 0BBBBB32
	v_mul_f32_e32 v222, v50, v222                              // 000000018A28: 0BBDBD32
	v_mul_f32_e32 v223, v50, v223                              // 000000018A2C: 0BBFBF32
	s_waitcnt lgkmcnt(0)                                       // 000000018A30: BF8CC07F
	s_barrier                                                  // 000000018A34: BF8A0000
	ds_read_b32 v64, v7 offset:16896                           // 000000018A38: D86C4200 40000007
	ds_read_b32 v65, v7 offset:16960                           // 000000018A40: D86C4240 41000007
	ds_read_b32 v66, v7 offset:17024                           // 000000018A48: D86C4280 42000007
	ds_read_b32 v67, v7 offset:17088                           // 000000018A50: D86C42C0 43000007
	ds_read_b32 v68, v7 offset:17152                           // 000000018A58: D86C4300 44000007
	ds_read_b32 v69, v7 offset:17216                           // 000000018A60: D86C4340 45000007
	ds_read_b32 v70, v7 offset:17280                           // 000000018A68: D86C4380 46000007
	ds_read_b32 v71, v7 offset:17344                           // 000000018A70: D86C43C0 47000007
	ds_read_b32 v72, v7 offset:17408                           // 000000018A78: D86C4400 48000007
	ds_read_b32 v73, v7 offset:17472                           // 000000018A80: D86C4440 49000007
	ds_read_b32 v74, v7 offset:17536                           // 000000018A88: D86C4480 4A000007
	ds_read_b32 v75, v7 offset:17600                           // 000000018A90: D86C44C0 4B000007
	ds_read_b32 v76, v7 offset:17664                           // 000000018A98: D86C4500 4C000007
	ds_read_b32 v77, v7 offset:17728                           // 000000018AA0: D86C4540 4D000007
	ds_read_b32 v78, v7 offset:17792                           // 000000018AA8: D86C4580 4E000007
	ds_read_b32 v79, v7 offset:17856                           // 000000018AB0: D86C45C0 4F000007
	v_cvt_f32_i32_e32 v184, v184                               // 000000018AB8: 7F700BB8
	v_cvt_f32_i32_e32 v185, v185                               // 000000018ABC: 7F720BB9
	v_cvt_f32_i32_e32 v186, v186                               // 000000018AC0: 7F740BBA
	v_cvt_f32_i32_e32 v187, v187                               // 000000018AC4: 7F760BBB
	v_cvt_f32_i32_e32 v188, v188                               // 000000018AC8: 7F780BBC
	v_cvt_f32_i32_e32 v189, v189                               // 000000018ACC: 7F7A0BBD
	v_cvt_f32_i32_e32 v190, v190                               // 000000018AD0: 7F7C0BBE
	v_cvt_f32_i32_e32 v191, v191                               // 000000018AD4: 7F7E0BBF
	v_mul_f32_e32 v184, v45, v184                              // 000000018AD8: 0B71712D
	v_mul_f32_e32 v185, v45, v185                              // 000000018ADC: 0B73732D
	v_mul_f32_e32 v186, v45, v186                              // 000000018AE0: 0B75752D
	v_mul_f32_e32 v187, v45, v187                              // 000000018AE4: 0B77772D
	v_mul_f32_e32 v188, v45, v188                              // 000000018AE8: 0B79792D
	v_mul_f32_e32 v189, v45, v189                              // 000000018AEC: 0B7B7B2D
	v_mul_f32_e32 v190, v45, v190                              // 000000018AF0: 0B7D7D2D
	v_mul_f32_e32 v191, v45, v191                              // 000000018AF4: 0B7F7F2D
	s_waitcnt lgkmcnt(0)                                       // 000000018AF8: BF8CC07F
	v_max3_f32 v48, v64, v65, v48                              // 000000018AFC: D1D30030 04C28340
	v_max3_f32 v48, v66, v67, v48                              // 000000018B04: D1D30030 04C28742
	v_max3_f32 v48, v68, v69, v48                              // 000000018B0C: D1D30030 04C28B44
	v_max3_f32 v48, v70, v71, v48                              // 000000018B14: D1D30030 04C28F46
	v_max3_f32 v48, v72, v73, v48                              // 000000018B1C: D1D30030 04C29348
	v_max3_f32 v48, v74, v75, v48                              // 000000018B24: D1D30030 04C2974A
	v_max3_f32 v48, v76, v77, v48                              // 000000018B2C: D1D30030 04C29B4C
	v_max3_f32 v48, v78, v79, v48                              // 000000018B34: D1D30030 04C29F4E
	v_mov_b32_e32 v64, 0xff800000                              // 000000018B3C: 7E8002FF FF800000
	v_cmp_eq_u32_e64 s[40:41], v64, v12                        // 000000018B44: D0CA0028 00021940
	s_nop 1                                                    // 000000018B4C: BF800001
	v_max_f32_e32 v15, v48, v12                                // 000000018B50: 161E1930
	v_mul_f32_e32 v53, s64, v15                                // 000000018B54: 0A6A1E40
	v_fma_f32 v128, v128, s64, -v53                            // 000000018B58: D1CB0080 84D48180
	v_fma_f32 v129, v129, s64, -v53                            // 000000018B60: D1CB0081 84D48181
	v_fma_f32 v130, v130, s64, -v53                            // 000000018B68: D1CB0082 84D48182
	v_fma_f32 v131, v131, s64, -v53                            // 000000018B70: D1CB0083 84D48183
	v_fma_f32 v132, v132, s64, -v53                            // 000000018B78: D1CB0084 84D48184
	v_fma_f32 v133, v133, s64, -v53                            // 000000018B80: D1CB0085 84D48185
	v_fma_f32 v134, v134, s64, -v53                            // 000000018B88: D1CB0086 84D48186
	v_fma_f32 v135, v135, s64, -v53                            // 000000018B90: D1CB0087 84D48187
	v_fma_f32 v136, v136, s64, -v53                            // 000000018B98: D1CB0088 84D48188
	v_fma_f32 v137, v137, s64, -v53                            // 000000018BA0: D1CB0089 84D48189
	v_fma_f32 v138, v138, s64, -v53                            // 000000018BA8: D1CB008A 84D4818A
	v_fma_f32 v139, v139, s64, -v53                            // 000000018BB0: D1CB008B 84D4818B
	v_fma_f32 v140, v140, s64, -v53                            // 000000018BB8: D1CB008C 84D4818C
	v_fma_f32 v141, v141, s64, -v53                            // 000000018BC0: D1CB008D 84D4818D
	v_fma_f32 v142, v142, s64, -v53                            // 000000018BC8: D1CB008E 84D4818E
	v_fma_f32 v143, v143, s64, -v53                            // 000000018BD0: D1CB008F 84D4818F
	v_exp_f32_e32 v128, v128                                   // 000000018BD8: 7F004180
	v_exp_f32_e32 v129, v129                                   // 000000018BDC: 7F024181
	v_exp_f32_e32 v130, v130                                   // 000000018BE0: 7F044182
	v_exp_f32_e32 v131, v131                                   // 000000018BE4: 7F064183
	v_exp_f32_e32 v132, v132                                   // 000000018BE8: 7F084184
	v_exp_f32_e32 v133, v133                                   // 000000018BEC: 7F0A4185
	v_exp_f32_e32 v134, v134                                   // 000000018BF0: 7F0C4186
	v_exp_f32_e32 v135, v135                                   // 000000018BF4: 7F0E4187
	v_exp_f32_e32 v136, v136                                   // 000000018BF8: 7F104188
	v_exp_f32_e32 v137, v137                                   // 000000018BFC: 7F124189
	v_exp_f32_e32 v138, v138                                   // 000000018C00: 7F14418A
	v_exp_f32_e32 v139, v139                                   // 000000018C04: 7F16418B
	v_exp_f32_e32 v140, v140                                   // 000000018C08: 7F18418C
	v_exp_f32_e32 v141, v141                                   // 000000018C0C: 7F1A418D
	v_exp_f32_e32 v142, v142                                   // 000000018C10: 7F1C418E
	v_exp_f32_e32 v143, v143                                   // 000000018C14: 7F1E418F
	v_mul_f32_dpp v240, v252, v128 quad_perm:[0,0,0,0] row_mask:0xf bank_mask:0xf// 000000018C18: 0BE100FA FF0000FC
	v_mul_f32_dpp v241, v252, v129 quad_perm:[1,1,1,1] row_mask:0xf bank_mask:0xf// 000000018C20: 0BE302FA FF0055FC
	v_mul_f32_dpp v242, v252, v130 quad_perm:[2,2,2,2] row_mask:0xf bank_mask:0xf// 000000018C28: 0BE504FA FF00AAFC
	v_mul_f32_dpp v243, v252, v131 quad_perm:[3,3,3,3] row_mask:0xf bank_mask:0xf// 000000018C30: 0BE706FA FF00FFFC
	v_mul_f32_dpp v244, v253, v132 quad_perm:[0,0,0,0] row_mask:0xf bank_mask:0xf// 000000018C38: 0BE908FA FF0000FD
	v_mul_f32_dpp v245, v253, v133 quad_perm:[1,1,1,1] row_mask:0xf bank_mask:0xf// 000000018C40: 0BEB0AFA FF0055FD
	v_mul_f32_dpp v246, v253, v134 quad_perm:[2,2,2,2] row_mask:0xf bank_mask:0xf// 000000018C48: 0BED0CFA FF00AAFD
	v_mul_f32_dpp v247, v253, v135 quad_perm:[3,3,3,3] row_mask:0xf bank_mask:0xf// 000000018C50: 0BEF0EFA FF00FFFD
	v_mul_f32_dpp v248, v254, v136 quad_perm:[0,0,0,0] row_mask:0xf bank_mask:0xf// 000000018C58: 0BF110FA FF0000FE
	v_mul_f32_dpp v249, v254, v137 quad_perm:[1,1,1,1] row_mask:0xf bank_mask:0xf// 000000018C60: 0BF312FA FF0055FE
	v_mul_f32_dpp v250, v254, v138 quad_perm:[2,2,2,2] row_mask:0xf bank_mask:0xf// 000000018C68: 0BF514FA FF00AAFE
	v_mul_f32_dpp v251, v254, v139 quad_perm:[3,3,3,3] row_mask:0xf bank_mask:0xf// 000000018C70: 0BF716FA FF00FFFE
	v_mul_f32_dpp v252, v255, v140 quad_perm:[0,0,0,0] row_mask:0xf bank_mask:0xf// 000000018C78: 0BF918FA FF0000FF
	v_mul_f32_dpp v253, v255, v141 quad_perm:[1,1,1,1] row_mask:0xf bank_mask:0xf// 000000018C80: 0BFB1AFA FF0055FF
	v_mul_f32_dpp v254, v255, v142 quad_perm:[2,2,2,2] row_mask:0xf bank_mask:0xf// 000000018C88: 0BFD1CFA FF00AAFF
	v_mul_f32_dpp v255, v255, v143 quad_perm:[3,3,3,3] row_mask:0xf bank_mask:0xf// 000000018C90: 0BFF1EFA FF00FFFF
	v_mov_b32_e32 v48, 0x358637bd                              // 000000018C98: 7E6002FF 358637BD
	v_max3_f32 v48, |v240|, |v241|, v48                        // 000000018CA0: D1D30330 04C3E3F0
	v_max3_f32 v48, |v242|, |v243|, v48                        // 000000018CA8: D1D30330 04C3E7F2
	v_max3_f32 v48, |v244|, |v245|, v48                        // 000000018CB0: D1D30330 04C3EBF4
	v_max3_f32 v48, |v246|, |v247|, v48                        // 000000018CB8: D1D30330 04C3EFF6
	v_max3_f32 v48, |v248|, |v249|, v48                        // 000000018CC0: D1D30330 04C3F3F8
	v_max3_f32 v48, |v250|, |v251|, v48                        // 000000018CC8: D1D30330 04C3F7FA
	v_max3_f32 v48, |v252|, |v253|, v48                        // 000000018CD0: D1D30330 04C3FBFC
	v_max3_f32 v48, |v254|, |v255|, v48                        // 000000018CD8: D1D30330 04C3FFFE
	ds_write_b32 v8, v48 offset:20992                          // 000000018CE0: D81A5200 00003008
	v_sub_f32_e32 v50, v12, v15                                // 000000018CE8: 04641F0C
	v_cndmask_b32_e64 v50, v50, 0, s[40:41]                    // 000000018CEC: D1000032 00A10132
	v_mov_b32_e32 v12, v15                                     // 000000018CF4: 7E18030F
	v_mul_f32_e32 v50, s64, v50                                // 000000018CF8: 0A646440
	v_exp_f32_e32 v50, v50                                     // 000000018CFC: 7E644132
	s_waitcnt lgkmcnt(0)                                       // 000000018D00: BF8CC07F
	s_barrier                                                  // 000000018D04: BF8A0000
	ds_read_b32 v64, v7 offset:20992                           // 000000018D08: D86C5200 40000007
	ds_read_b32 v65, v7 offset:21056                           // 000000018D10: D86C5240 41000007
	ds_read_b32 v66, v7 offset:21120                           // 000000018D18: D86C5280 42000007
	ds_read_b32 v67, v7 offset:21184                           // 000000018D20: D86C52C0 43000007
	ds_read_b32 v68, v7 offset:21248                           // 000000018D28: D86C5300 44000007
	ds_read_b32 v69, v7 offset:21312                           // 000000018D30: D86C5340 45000007
	ds_read_b32 v70, v7 offset:21376                           // 000000018D38: D86C5380 46000007
	ds_read_b32 v71, v7 offset:21440                           // 000000018D40: D86C53C0 47000007
	ds_read_b32 v72, v7 offset:21504                           // 000000018D48: D86C5400 48000007
	ds_read_b32 v73, v7 offset:21568                           // 000000018D50: D86C5440 49000007
	ds_read_b32 v74, v7 offset:21632                           // 000000018D58: D86C5480 4A000007
	ds_read_b32 v75, v7 offset:21696                           // 000000018D60: D86C54C0 4B000007
	ds_read_b32 v76, v7 offset:21760                           // 000000018D68: D86C5500 4C000007
	ds_read_b32 v77, v7 offset:21824                           // 000000018D70: D86C5540 4D000007
	ds_read_b32 v78, v7 offset:21888                           // 000000018D78: D86C5580 4E000007
	ds_read_b32 v79, v7 offset:21952                           // 000000018D80: D86C55C0 4F000007
	v_mul_f32_e32 v39, v50, v39                                // 000000018D88: 0A4E4F32
	v_mov_b32_e32 v15, v128                                    // 000000018D8C: 7E1E0380
	v_add_f32_e32 v15, v129, v15                               // 000000018D90: 021E1F81
	v_add_f32_e32 v15, v130, v15                               // 000000018D94: 021E1F82
	v_add_f32_e32 v15, v131, v15                               // 000000018D98: 021E1F83
	v_add_f32_e32 v15, v132, v15                               // 000000018D9C: 021E1F84
	v_add_f32_e32 v15, v133, v15                               // 000000018DA0: 021E1F85
	v_add_f32_e32 v15, v134, v15                               // 000000018DA4: 021E1F86
	v_add_f32_e32 v15, v135, v15                               // 000000018DA8: 021E1F87
	v_add_f32_e32 v15, v136, v15                               // 000000018DAC: 021E1F88
	v_add_f32_e32 v15, v137, v15                               // 000000018DB0: 021E1F89
	v_add_f32_e32 v15, v138, v15                               // 000000018DB4: 021E1F8A
	v_add_f32_e32 v15, v139, v15                               // 000000018DB8: 021E1F8B
	v_add_f32_e32 v15, v140, v15                               // 000000018DBC: 021E1F8C
	v_add_f32_e32 v15, v141, v15                               // 000000018DC0: 021E1F8D
	v_add_f32_e32 v15, v142, v15                               // 000000018DC4: 021E1F8E
	v_add_f32_e32 v15, v143, v15                               // 000000018DC8: 021E1F8F
	v_add_f32_e32 v39, v15, v39                                // 000000018DCC: 024E4F0F
	s_waitcnt lgkmcnt(0)                                       // 000000018DD0: BF8CC07F
	v_max3_f32 v48, |v64|, |v65|, v48                          // 000000018DD4: D1D30330 04C28340
	v_max3_f32 v48, |v66|, |v67|, v48                          // 000000018DDC: D1D30330 04C28742
	v_max3_f32 v48, |v68|, |v69|, v48                          // 000000018DE4: D1D30330 04C28B44
	v_max3_f32 v48, |v70|, |v71|, v48                          // 000000018DEC: D1D30330 04C28F46
	v_max3_f32 v48, |v72|, |v73|, v48                          // 000000018DF4: D1D30330 04C29348
	v_max3_f32 v48, |v74|, |v75|, v48                          // 000000018DFC: D1D30330 04C2974A
	v_max3_f32 v48, |v76|, |v77|, v48                          // 000000018E04: D1D30330 04C29B4C
	v_max3_f32 v48, |v78|, |v79|, v48                          // 000000018E0C: D1D30330 04C29F4E
	s_nop 2                                                    // 000000018E14: BF800002
	v_rcp_f32_e32 v48, v48                                     // 000000018E18: 7E604530
	s_nop 1                                                    // 000000018E1C: BF800001
	v_mul_f32_e32 v48, 0x42fe0000, v48                         // 000000018E20: 0A6060FF 42FE0000
	v_mul_f32_e32 v128, v48, v240                              // 000000018E28: 0B01E130
	v_mul_f32_e32 v129, v48, v241                              // 000000018E2C: 0B03E330
	v_mul_f32_e32 v130, v48, v242                              // 000000018E30: 0B05E530
	v_mul_f32_e32 v131, v48, v243                              // 000000018E34: 0B07E730
	v_mul_f32_e32 v132, v48, v244                              // 000000018E38: 0B09E930
	v_mul_f32_e32 v133, v48, v245                              // 000000018E3C: 0B0BEB30
	v_mul_f32_e32 v134, v48, v246                              // 000000018E40: 0B0DED30
	v_mul_f32_e32 v135, v48, v247                              // 000000018E44: 0B0FEF30
	v_mul_f32_e32 v136, v48, v248                              // 000000018E48: 0B11F130
	v_mul_f32_e32 v137, v48, v249                              // 000000018E4C: 0B13F330
	v_mul_f32_e32 v138, v48, v250                              // 000000018E50: 0B15F530
	v_mul_f32_e32 v139, v48, v251                              // 000000018E54: 0B17F730
	v_mul_f32_e32 v140, v48, v252                              // 000000018E58: 0B19F930
	v_mul_f32_e32 v141, v48, v253                              // 000000018E5C: 0B1BFB30
	v_mul_f32_e32 v142, v48, v254                              // 000000018E60: 0B1DFD30
	v_mul_f32_e32 v143, v48, v255                              // 000000018E64: 0B1FFF30
	v_cvt_i32_f32_e32 v128, v128                               // 000000018E68: 7F001180
	v_cvt_i32_f32_e32 v129, v129                               // 000000018E6C: 7F021181
	v_cvt_i32_f32_e32 v130, v130                               // 000000018E70: 7F041182
	v_cvt_i32_f32_e32 v131, v131                               // 000000018E74: 7F061183
	v_cvt_i32_f32_e32 v132, v132                               // 000000018E78: 7F081184
	v_cvt_i32_f32_e32 v133, v133                               // 000000018E7C: 7F0A1185
	v_cvt_i32_f32_e32 v134, v134                               // 000000018E80: 7F0C1186
	v_cvt_i32_f32_e32 v135, v135                               // 000000018E84: 7F0E1187
	v_cvt_i32_f32_e32 v136, v136                               // 000000018E88: 7F101188
	v_cvt_i32_f32_e32 v137, v137                               // 000000018E8C: 7F121189
	v_cvt_i32_f32_e32 v138, v138                               // 000000018E90: 7F14118A
	v_cvt_i32_f32_e32 v139, v139                               // 000000018E94: 7F16118B
	v_cvt_i32_f32_e32 v140, v140                               // 000000018E98: 7F18118C
	v_cvt_i32_f32_e32 v141, v141                               // 000000018E9C: 7F1A118D
	v_cvt_i32_f32_e32 v142, v142                               // 000000018EA0: 7F1C118E
	v_cvt_i32_f32_e32 v143, v143                               // 000000018EA4: 7F1E118F
	v_perm_b32 v128, v129, v128, s53                           // 000000018EA8: D1ED0080 00D70181
	v_perm_b32 v128, v130, v128, s54                           // 000000018EB0: D1ED0080 00DB0182
	v_perm_b32 v128, v131, v128, s55                           // 000000018EB8: D1ED0080 00DF0183
	v_perm_b32 v129, v133, v132, s53                           // 000000018EC0: D1ED0081 00D70985
	v_perm_b32 v129, v134, v129, s54                           // 000000018EC8: D1ED0081 00DB0386
	v_perm_b32 v129, v135, v129, s55                           // 000000018ED0: D1ED0081 00DF0387
	v_perm_b32 v130, v137, v136, s53                           // 000000018ED8: D1ED0082 00D71189
	v_perm_b32 v130, v138, v130, s54                           // 000000018EE0: D1ED0082 00DB058A
	v_perm_b32 v130, v139, v130, s55                           // 000000018EE8: D1ED0082 00DF058B
	v_perm_b32 v131, v141, v140, s53                           // 000000018EF0: D1ED0083 00D7198D
	v_perm_b32 v131, v142, v131, s54                           // 000000018EF8: D1ED0083 00DB078E
	v_perm_b32 v131, v143, v131, s55                           // 000000018F00: D1ED0083 00DF078F
	ds_write_b32 v10, v128 offset:29184                        // 000000018F08: D81A7200 0000800A
	ds_write_b32 v10, v129 offset:30208                        // 000000018F10: D81A7600 0000810A
	ds_write_b32 v10, v130 offset:31232                        // 000000018F18: D81A7A00 0000820A
	ds_write_b32 v10, v131 offset:32256                        // 000000018F20: D81A7E00 0000830A
	v_add_f32_e32 v216, v216, v184                             // 000000018F28: 03B171D8
	v_add_f32_e32 v217, v217, v185                             // 000000018F2C: 03B373D9
	v_add_f32_e32 v218, v218, v186                             // 000000018F30: 03B575DA
	v_add_f32_e32 v219, v219, v187                             // 000000018F34: 03B777DB
	v_add_f32_e32 v220, v220, v188                             // 000000018F38: 03B979DC
	v_add_f32_e32 v221, v221, v189                             // 000000018F3C: 03BB7BDD
	v_add_f32_e32 v222, v222, v190                             // 000000018F40: 03BD7DDE
	v_add_f32_e32 v223, v223, v191                             // 000000018F44: 03BF7FDF
	v_rcp_f32_e32 v45, v48                                     // 000000018F48: 7E5A4530
	s_waitcnt lgkmcnt(0)                                       // 000000018F4C: BF8CC07F
	s_barrier                                                  // 000000018F50: BF8A0000
	ds_read_b64 v[128:129], v9 offset:29184                    // 000000018F54: D8EC7200 80000009
	ds_read_b64 v[130:131], v9 offset:29312                    // 000000018F5C: D8EC7280 82000009
	ds_read_b64 v[132:133], v9 offset:30208                    // 000000018F64: D8EC7600 84000009
	ds_read_b64 v[134:135], v9 offset:30336                    // 000000018F6C: D8EC7680 86000009
	ds_read_b64 v[136:137], v9 offset:31232                    // 000000018F74: D8EC7A00 88000009
	ds_read_b64 v[138:139], v9 offset:31360                    // 000000018F7C: D8EC7A80 8A000009
	ds_read_b64 v[140:141], v9 offset:32256                    // 000000018F84: D8EC7E00 8C000009
	ds_read_b64 v[142:143], v9 offset:32384                    // 000000018F8C: D8EC7E80 8E000009
	v_mov_b32_dpp v64, v43 row_shr:4 row_mask:0xf bank_mask:0xf// 000000018F94: 7E8002FA FF01142B
	v_mov_b32_dpp v65, v43 row_shl:4 row_mask:0xf bank_mask:0xf// 000000018F9C: 7E8202FA FF01042B
	v_cndmask_b32_e64 v248, v43, v64, s[44:45]                 // 000000018FA4: D10000F8 00B2812B
	v_cndmask_b32_e64 v249, v65, v43, s[44:45]                 // 000000018FAC: D10000F9 00B25741
	v_mov_b32_dpp v64, v248 row_shr:8 row_mask:0xf bank_mask:0xf// 000000018FB4: 7E8002FA FF0118F8
	v_mov_b32_dpp v65, v248 row_shl:8 row_mask:0xf bank_mask:0xf// 000000018FBC: 7E8202FA FF0108F8
	v_mov_b32_dpp v66, v249 row_shr:8 row_mask:0xf bank_mask:0xf// 000000018FC4: 7E8402FA FF0118F9
	v_mov_b32_dpp v67, v249 row_shl:8 row_mask:0xf bank_mask:0xf// 000000018FCC: 7E8602FA FF0108F9
	v_mov_b32_e32 v68, v248                                    // 000000018FD4: 7E8803F8
	v_mov_b32_e32 v69, v249                                    // 000000018FD8: 7E8A03F9
	v_cndmask_b32_e64 v248, v68, v64, s[42:43]                 // 000000018FDC: D10000F8 00AA8144
	v_cndmask_b32_e64 v250, v68, v65, s[78:79]                 // 000000018FE4: D10000FA 013A8344
	v_cndmask_b32_e64 v249, v69, v66, s[42:43]                 // 000000018FEC: D10000F9 00AA8545
	v_cndmask_b32_e64 v251, v69, v67, s[78:79]                 // 000000018FF4: D10000FB 013A8745
	v_mov_b32_dpp v64, v58 row_shr:4 row_mask:0xf bank_mask:0xf// 000000018FFC: 7E8002FA FF01143A
	v_mov_b32_dpp v65, v58 row_shl:4 row_mask:0xf bank_mask:0xf// 000000019004: 7E8202FA FF01043A
	v_cndmask_b32_e64 v252, v58, v64, s[44:45]                 // 00000001900C: D10000FC 00B2813A
	v_cndmask_b32_e64 v253, v65, v58, s[44:45]                 // 000000019014: D10000FD 00B27541
	v_mov_b32_dpp v64, v252 row_shr:8 row_mask:0xf bank_mask:0xf// 00000001901C: 7E8002FA FF0118FC
	v_mov_b32_dpp v65, v252 row_shl:8 row_mask:0xf bank_mask:0xf// 000000019024: 7E8202FA FF0108FC
	v_mov_b32_dpp v66, v253 row_shr:8 row_mask:0xf bank_mask:0xf// 00000001902C: 7E8402FA FF0118FD
	v_mov_b32_dpp v67, v253 row_shl:8 row_mask:0xf bank_mask:0xf// 000000019034: 7E8602FA FF0108FD
	v_mov_b32_e32 v68, v252                                    // 00000001903C: 7E8803FC
	v_mov_b32_e32 v69, v253                                    // 000000019040: 7E8A03FD
	v_cndmask_b32_e64 v252, v68, v64, s[42:43]                 // 000000019044: D10000FC 00AA8144
	v_cndmask_b32_e64 v254, v68, v65, s[78:79]                 // 00000001904C: D10000FE 013A8344
	v_cndmask_b32_e64 v253, v69, v66, s[42:43]                 // 000000019054: D10000FD 00AA8545
	v_cndmask_b32_e64 v255, v69, v67, s[78:79]                 // 00000001905C: D10000FF 013A8745
	v_cvt_f32_i32_e32 v144, v144                               // 000000019064: 7F200B90
	v_cvt_f32_i32_e32 v145, v145                               // 000000019068: 7F220B91
	v_cvt_f32_i32_e32 v146, v146                               // 00000001906C: 7F240B92
	v_cvt_f32_i32_e32 v147, v147                               // 000000019070: 7F260B93
	v_cvt_f32_i32_e32 v148, v148                               // 000000019074: 7F280B94
	v_cvt_f32_i32_e32 v149, v149                               // 000000019078: 7F2A0B95
	v_cvt_f32_i32_e32 v150, v150                               // 00000001907C: 7F2C0B96
	v_cvt_f32_i32_e32 v151, v151                               // 000000019080: 7F2E0B97
	v_cvt_f32_i32_e32 v152, v152                               // 000000019084: 7F300B98
	v_cvt_f32_i32_e32 v153, v153                               // 000000019088: 7F320B99
	v_cvt_f32_i32_e32 v154, v154                               // 00000001908C: 7F340B9A
	v_cvt_f32_i32_e32 v155, v155                               // 000000019090: 7F360B9B
	v_cvt_f32_i32_e32 v156, v156                               // 000000019094: 7F380B9C
	v_cvt_f32_i32_e32 v157, v157                               // 000000019098: 7F3A0B9D
	v_cvt_f32_i32_e32 v158, v158                               // 00000001909C: 7F3C0B9E
	v_cvt_f32_i32_e32 v159, v159                               // 0000000190A0: 7F3E0B9F
	v_mul_f32_e32 v144, v20, v144                              // 0000000190A4: 0B212114
	v_mul_f32_e32 v145, v20, v145                              // 0000000190A8: 0B232314
	v_mul_f32_e32 v146, v20, v146                              // 0000000190AC: 0B252514
	v_mul_f32_e32 v147, v20, v147                              // 0000000190B0: 0B272714
	v_mul_f32_e32 v148, v20, v148                              // 0000000190B4: 0B292914
	v_mul_f32_e32 v149, v20, v149                              // 0000000190B8: 0B2B2B14
	v_mul_f32_e32 v150, v20, v150                              // 0000000190BC: 0B2D2D14
	v_mul_f32_e32 v151, v20, v151                              // 0000000190C0: 0B2F2F14
	v_mul_f32_e32 v152, v20, v152                              // 0000000190C4: 0B313114
	v_mul_f32_e32 v153, v20, v153                              // 0000000190C8: 0B333314
	v_mul_f32_e32 v154, v20, v154                              // 0000000190CC: 0B353514
	v_mul_f32_e32 v155, v20, v155                              // 0000000190D0: 0B373714
	v_mul_f32_e32 v156, v20, v156                              // 0000000190D4: 0B393914
	v_mul_f32_e32 v157, v20, v157                              // 0000000190D8: 0B3B3B14
	v_mul_f32_e32 v158, v20, v158                              // 0000000190DC: 0B3D3D14
	v_mul_f32_e32 v159, v20, v159                              // 0000000190E0: 0B3F3F14
	v_mul_f32_dpp v144, v248, v144 quad_perm:[0,0,0,0] row_mask:0xf bank_mask:0xf// 0000000190E4: 0B2120FA FF0000F8
	v_mul_f32_dpp v145, v248, v145 quad_perm:[1,1,1,1] row_mask:0xf bank_mask:0xf// 0000000190EC: 0B2322FA FF0055F8
	v_mul_f32_dpp v146, v248, v146 quad_perm:[2,2,2,2] row_mask:0xf bank_mask:0xf// 0000000190F4: 0B2524FA FF00AAF8
	v_mul_f32_dpp v147, v248, v147 quad_perm:[3,3,3,3] row_mask:0xf bank_mask:0xf// 0000000190FC: 0B2726FA FF00FFF8
	v_mul_f32_dpp v148, v249, v148 quad_perm:[0,0,0,0] row_mask:0xf bank_mask:0xf// 000000019104: 0B2928FA FF0000F9
	v_mul_f32_dpp v149, v249, v149 quad_perm:[1,1,1,1] row_mask:0xf bank_mask:0xf// 00000001910C: 0B2B2AFA FF0055F9
	v_mul_f32_dpp v150, v249, v150 quad_perm:[2,2,2,2] row_mask:0xf bank_mask:0xf// 000000019114: 0B2D2CFA FF00AAF9
	v_mul_f32_dpp v151, v249, v151 quad_perm:[3,3,3,3] row_mask:0xf bank_mask:0xf// 00000001911C: 0B2F2EFA FF00FFF9
	v_mul_f32_dpp v152, v250, v152 quad_perm:[0,0,0,0] row_mask:0xf bank_mask:0xf// 000000019124: 0B3130FA FF0000FA
	v_mul_f32_dpp v153, v250, v153 quad_perm:[1,1,1,1] row_mask:0xf bank_mask:0xf// 00000001912C: 0B3332FA FF0055FA
	v_mul_f32_dpp v154, v250, v154 quad_perm:[2,2,2,2] row_mask:0xf bank_mask:0xf// 000000019134: 0B3534FA FF00AAFA
	v_mul_f32_dpp v155, v250, v155 quad_perm:[3,3,3,3] row_mask:0xf bank_mask:0xf// 00000001913C: 0B3736FA FF00FFFA
	v_mul_f32_dpp v156, v251, v156 quad_perm:[0,0,0,0] row_mask:0xf bank_mask:0xf// 000000019144: 0B3938FA FF0000FB
	v_mul_f32_dpp v157, v251, v157 quad_perm:[1,1,1,1] row_mask:0xf bank_mask:0xf// 00000001914C: 0B3B3AFA FF0055FB
	v_mul_f32_dpp v158, v251, v158 quad_perm:[2,2,2,2] row_mask:0xf bank_mask:0xf// 000000019154: 0B3D3CFA FF00AAFB
	v_mul_f32_dpp v159, v251, v159 quad_perm:[3,3,3,3] row_mask:0xf bank_mask:0xf// 00000001915C: 0B3F3EFA FF00FFFB
	s_cmp_le_i32 s90, s89                                      // 000000019164: BF05595A
	s_cbranch_scc1 label_5C4C                                  // 000000019168: BF850071
	v_mov_b32_e32 v66, 0xff800000                              // 00000001916C: 7E8402FF FF800000
	s_mov_b32 s60, s90                                         // 000000019174: BEBC005A
	s_add_u32 s61, s89, 0xff                                   // 000000019178: 803DFF59 000000FF
	v_mov_b32_e32 v64, s61                                     // 000000019180: 7E80023D
	v_lshrrev_b32_e32 v240, 4, v0                              // 000000019184: 21E00084
	v_mul_i32_i24_e32 v240, 4, v240                            // 000000019188: 0DE1E084
	v_add_u32_e32 v240, s60, v240                              // 00000001918C: 69E1E03C
	s_mov_b32 s61, 2                                           // 000000019190: BEBD0082
	s_mul_i32 s60, 16, s7                                      // 000000019194: 923C0790
	v_sub_u32_e64 v240, v240, s61                              // 000000019198: D13500F0 00007BF0
	v_add_u32_e32 v240, s60, v240                              // 0000000191A0: 69E1E03C
	v_add_u32_e32 v241, 1, v240                                // 0000000191A4: 69E3E081
	v_add_u32_e32 v242, 2, v240                                // 0000000191A8: 69E5E082
	v_add_u32_e32 v243, 3, v240                                // 0000000191AC: 69E7E083
	v_cmp_le_u32_e64 s[40:41], v240, v64                       // 0000000191B0: D0CB0028 000281F0
	v_add_u32_e32 v240, 64, v240                               // 0000000191B8: 69E1E0C0
	s_nop 0                                                    // 0000000191BC: BF800000
	v_cndmask_b32_e64 v144, v66, v144, s[40:41]                // 0000000191C0: D1000090 00A32142
	v_cmp_le_u32_e64 s[40:41], v241, v64                       // 0000000191C8: D0CB0028 000281F1
	v_add_u32_e32 v241, 64, v241                               // 0000000191D0: 69E3E2C0
	s_nop 0                                                    // 0000000191D4: BF800000
	v_cndmask_b32_e64 v145, v66, v145, s[40:41]                // 0000000191D8: D1000091 00A32342
	v_cmp_le_u32_e64 s[40:41], v242, v64                       // 0000000191E0: D0CB0028 000281F2
	v_add_u32_e32 v242, 64, v242                               // 0000000191E8: 69E5E4C0
	s_nop 0                                                    // 0000000191EC: BF800000
	v_cndmask_b32_e64 v146, v66, v146, s[40:41]                // 0000000191F0: D1000092 00A32542
	v_cmp_le_u32_e64 s[40:41], v243, v64                       // 0000000191F8: D0CB0028 000281F3
	v_add_u32_e32 v243, 64, v243                               // 000000019200: 69E7E6C0
	s_nop 0                                                    // 000000019204: BF800000
	v_cndmask_b32_e64 v147, v66, v147, s[40:41]                // 000000019208: D1000093 00A32742
	v_cmp_le_u32_e64 s[40:41], v240, v64                       // 000000019210: D0CB0028 000281F0
	v_add_u32_e32 v240, 64, v240                               // 000000019218: 69E1E0C0
	s_nop 0                                                    // 00000001921C: BF800000
	v_cndmask_b32_e64 v148, v66, v148, s[40:41]                // 000000019220: D1000094 00A32942
	v_cmp_le_u32_e64 s[40:41], v241, v64                       // 000000019228: D0CB0028 000281F1
	v_add_u32_e32 v241, 64, v241                               // 000000019230: 69E3E2C0
	s_nop 0                                                    // 000000019234: BF800000
	v_cndmask_b32_e64 v149, v66, v149, s[40:41]                // 000000019238: D1000095 00A32B42
	v_cmp_le_u32_e64 s[40:41], v242, v64                       // 000000019240: D0CB0028 000281F2
	v_add_u32_e32 v242, 64, v242                               // 000000019248: 69E5E4C0
	s_nop 0                                                    // 00000001924C: BF800000
	v_cndmask_b32_e64 v150, v66, v150, s[40:41]                // 000000019250: D1000096 00A32D42
	v_cmp_le_u32_e64 s[40:41], v243, v64                       // 000000019258: D0CB0028 000281F3
	v_add_u32_e32 v243, 64, v243                               // 000000019260: 69E7E6C0
	s_nop 0                                                    // 000000019264: BF800000
	v_cndmask_b32_e64 v151, v66, v151, s[40:41]                // 000000019268: D1000097 00A32F42
	v_cmp_le_u32_e64 s[40:41], v240, v64                       // 000000019270: D0CB0028 000281F0
	v_add_u32_e32 v240, 64, v240                               // 000000019278: 69E1E0C0
	s_nop 0                                                    // 00000001927C: BF800000
	v_cndmask_b32_e64 v152, v66, v152, s[40:41]                // 000000019280: D1000098 00A33142
	v_cmp_le_u32_e64 s[40:41], v241, v64                       // 000000019288: D0CB0028 000281F1
	v_add_u32_e32 v241, 64, v241                               // 000000019290: 69E3E2C0
	s_nop 0                                                    // 000000019294: BF800000
	v_cndmask_b32_e64 v153, v66, v153, s[40:41]                // 000000019298: D1000099 00A33342
	v_cmp_le_u32_e64 s[40:41], v242, v64                       // 0000000192A0: D0CB0028 000281F2
	v_add_u32_e32 v242, 64, v242                               // 0000000192A8: 69E5E4C0
	s_nop 0                                                    // 0000000192AC: BF800000
	v_cndmask_b32_e64 v154, v66, v154, s[40:41]                // 0000000192B0: D100009A 00A33542
	v_cmp_le_u32_e64 s[40:41], v243, v64                       // 0000000192B8: D0CB0028 000281F3
	v_add_u32_e32 v243, 64, v243                               // 0000000192C0: 69E7E6C0
	s_nop 0                                                    // 0000000192C4: BF800000
	v_cndmask_b32_e64 v155, v66, v155, s[40:41]                // 0000000192C8: D100009B 00A33742
	v_cmp_le_u32_e64 s[40:41], v240, v64                       // 0000000192D0: D0CB0028 000281F0
	v_add_u32_e32 v240, 64, v240                               // 0000000192D8: 69E1E0C0
	s_nop 0                                                    // 0000000192DC: BF800000
	v_cndmask_b32_e64 v156, v66, v156, s[40:41]                // 0000000192E0: D100009C 00A33942
	v_cmp_le_u32_e64 s[40:41], v241, v64                       // 0000000192E8: D0CB0028 000281F1
	v_add_u32_e32 v241, 64, v241                               // 0000000192F0: 69E3E2C0
	s_nop 0                                                    // 0000000192F4: BF800000
	v_cndmask_b32_e64 v157, v66, v157, s[40:41]                // 0000000192F8: D100009D 00A33B42
	v_cmp_le_u32_e64 s[40:41], v242, v64                       // 000000019300: D0CB0028 000281F2
	v_add_u32_e32 v242, 64, v242                               // 000000019308: 69E5E4C0
	s_nop 0                                                    // 00000001930C: BF800000
	v_cndmask_b32_e64 v158, v66, v158, s[40:41]                // 000000019310: D100009E 00A33D42
	v_cmp_le_u32_e64 s[40:41], v243, v64                       // 000000019318: D0CB0028 000281F3
	v_add_u32_e32 v243, 64, v243                               // 000000019320: 69E7E6C0
	s_nop 0                                                    // 000000019324: BF800000
	v_cndmask_b32_e64 v159, v66, v159, s[40:41]                // 000000019328: D100009F 00A33F42

0000000000019330 <label_5C4C>:
	s_add_u32 s90, s91, s90                                    // 000000019330: 805A5A5B
	v_mov_b32_e32 v48, v144                                    // 000000019334: 7E600390
	v_max3_f32 v48, v144, v145, v48                            // 000000019338: D1D30030 04C32390
	v_max3_f32 v48, v146, v147, v48                            // 000000019340: D1D30030 04C32792
	v_max3_f32 v48, v148, v149, v48                            // 000000019348: D1D30030 04C32B94
	v_max3_f32 v48, v150, v151, v48                            // 000000019350: D1D30030 04C32F96
	v_max3_f32 v48, v152, v153, v48                            // 000000019358: D1D30030 04C33398
	v_max3_f32 v48, v154, v155, v48                            // 000000019360: D1D30030 04C3379A
	v_max3_f32 v48, v156, v157, v48                            // 000000019368: D1D30030 04C33B9C
	v_max3_f32 v48, v158, v159, v48                            // 000000019370: D1D30030 04C33F9E
	ds_write_b32 v8, v48 offset:16896                          // 000000019378: D81A4200 00003008
	v_mul_f32_e32 v224, v51, v224                              // 000000019380: 0BC1C133
	v_mul_f32_e32 v225, v51, v225                              // 000000019384: 0BC3C333
	v_mul_f32_e32 v226, v51, v226                              // 000000019388: 0BC5C533
	v_mul_f32_e32 v227, v51, v227                              // 00000001938C: 0BC7C733
	v_mul_f32_e32 v228, v51, v228                              // 000000019390: 0BC9C933
	v_mul_f32_e32 v229, v51, v229                              // 000000019394: 0BCBCB33
	v_mul_f32_e32 v230, v51, v230                              // 000000019398: 0BCDCD33
	v_mul_f32_e32 v231, v51, v231                              // 00000001939C: 0BCFCF33
	s_waitcnt lgkmcnt(0)                                       // 0000000193A0: BF8CC07F
	s_barrier                                                  // 0000000193A4: BF8A0000
	ds_read_b32 v64, v7 offset:16896                           // 0000000193A8: D86C4200 40000007
	ds_read_b32 v65, v7 offset:16960                           // 0000000193B0: D86C4240 41000007
	ds_read_b32 v66, v7 offset:17024                           // 0000000193B8: D86C4280 42000007
	ds_read_b32 v67, v7 offset:17088                           // 0000000193C0: D86C42C0 43000007
	ds_read_b32 v68, v7 offset:17152                           // 0000000193C8: D86C4300 44000007
	ds_read_b32 v69, v7 offset:17216                           // 0000000193D0: D86C4340 45000007
	ds_read_b32 v70, v7 offset:17280                           // 0000000193D8: D86C4380 46000007
	ds_read_b32 v71, v7 offset:17344                           // 0000000193E0: D86C43C0 47000007
	ds_read_b32 v72, v7 offset:17408                           // 0000000193E8: D86C4400 48000007
	ds_read_b32 v73, v7 offset:17472                           // 0000000193F0: D86C4440 49000007
	ds_read_b32 v74, v7 offset:17536                           // 0000000193F8: D86C4480 4A000007
	ds_read_b32 v75, v7 offset:17600                           // 000000019400: D86C44C0 4B000007
	ds_read_b32 v76, v7 offset:17664                           // 000000019408: D86C4500 4C000007
	ds_read_b32 v77, v7 offset:17728                           // 000000019410: D86C4540 4D000007
	ds_read_b32 v78, v7 offset:17792                           // 000000019418: D86C4580 4E000007
	ds_read_b32 v79, v7 offset:17856                           // 000000019420: D86C45C0 4F000007
	v_cvt_f32_i32_e32 v192, v192                               // 000000019428: 7F800BC0
	v_cvt_f32_i32_e32 v193, v193                               // 00000001942C: 7F820BC1
	v_cvt_f32_i32_e32 v194, v194                               // 000000019430: 7F840BC2
	v_cvt_f32_i32_e32 v195, v195                               // 000000019434: 7F860BC3
	v_cvt_f32_i32_e32 v196, v196                               // 000000019438: 7F880BC4
	v_cvt_f32_i32_e32 v197, v197                               // 00000001943C: 7F8A0BC5
	v_cvt_f32_i32_e32 v198, v198                               // 000000019440: 7F8C0BC6
	v_cvt_f32_i32_e32 v199, v199                               // 000000019444: 7F8E0BC7
	v_mul_f32_e32 v192, v46, v192                              // 000000019448: 0B81812E
	v_mul_f32_e32 v193, v46, v193                              // 00000001944C: 0B83832E
	v_mul_f32_e32 v194, v46, v194                              // 000000019450: 0B85852E
	v_mul_f32_e32 v195, v46, v195                              // 000000019454: 0B87872E
	v_mul_f32_e32 v196, v46, v196                              // 000000019458: 0B89892E
	v_mul_f32_e32 v197, v46, v197                              // 00000001945C: 0B8B8B2E
	v_mul_f32_e32 v198, v46, v198                              // 000000019460: 0B8D8D2E
	v_mul_f32_e32 v199, v46, v199                              // 000000019464: 0B8F8F2E
	s_waitcnt lgkmcnt(0)                                       // 000000019468: BF8CC07F
	v_max3_f32 v48, v64, v65, v48                              // 00000001946C: D1D30030 04C28340
	v_max3_f32 v48, v66, v67, v48                              // 000000019474: D1D30030 04C28742
	v_max3_f32 v48, v68, v69, v48                              // 00000001947C: D1D30030 04C28B44
	v_max3_f32 v48, v70, v71, v48                              // 000000019484: D1D30030 04C28F46
	v_max3_f32 v48, v72, v73, v48                              // 00000001948C: D1D30030 04C29348
	v_max3_f32 v48, v74, v75, v48                              // 000000019494: D1D30030 04C2974A
	v_max3_f32 v48, v76, v77, v48                              // 00000001949C: D1D30030 04C29B4C
	v_max3_f32 v48, v78, v79, v48                              // 0000000194A4: D1D30030 04C29F4E
	v_mov_b32_e32 v64, 0xff800000                              // 0000000194AC: 7E8002FF FF800000
	v_cmp_eq_u32_e64 s[40:41], v64, v13                        // 0000000194B4: D0CA0028 00021B40
	s_nop 1                                                    // 0000000194BC: BF800001
	v_max_f32_e32 v15, v48, v13                                // 0000000194C0: 161E1B30
	v_mul_f32_e32 v53, s64, v15                                // 0000000194C4: 0A6A1E40
	v_fma_f32 v144, v144, s64, -v53                            // 0000000194C8: D1CB0090 84D48190
	v_fma_f32 v145, v145, s64, -v53                            // 0000000194D0: D1CB0091 84D48191
	v_fma_f32 v146, v146, s64, -v53                            // 0000000194D8: D1CB0092 84D48192
	v_fma_f32 v147, v147, s64, -v53                            // 0000000194E0: D1CB0093 84D48193
	v_fma_f32 v148, v148, s64, -v53                            // 0000000194E8: D1CB0094 84D48194
	v_fma_f32 v149, v149, s64, -v53                            // 0000000194F0: D1CB0095 84D48195
	v_fma_f32 v150, v150, s64, -v53                            // 0000000194F8: D1CB0096 84D48196
	v_fma_f32 v151, v151, s64, -v53                            // 000000019500: D1CB0097 84D48197
	v_fma_f32 v152, v152, s64, -v53                            // 000000019508: D1CB0098 84D48198
	v_fma_f32 v153, v153, s64, -v53                            // 000000019510: D1CB0099 84D48199
	v_fma_f32 v154, v154, s64, -v53                            // 000000019518: D1CB009A 84D4819A
	v_fma_f32 v155, v155, s64, -v53                            // 000000019520: D1CB009B 84D4819B
	v_fma_f32 v156, v156, s64, -v53                            // 000000019528: D1CB009C 84D4819C
	v_fma_f32 v157, v157, s64, -v53                            // 000000019530: D1CB009D 84D4819D
	v_fma_f32 v158, v158, s64, -v53                            // 000000019538: D1CB009E 84D4819E
	v_fma_f32 v159, v159, s64, -v53                            // 000000019540: D1CB009F 84D4819F
	v_exp_f32_e32 v144, v144                                   // 000000019548: 7F204190
	v_exp_f32_e32 v145, v145                                   // 00000001954C: 7F224191
	v_exp_f32_e32 v146, v146                                   // 000000019550: 7F244192
	v_exp_f32_e32 v147, v147                                   // 000000019554: 7F264193
	v_exp_f32_e32 v148, v148                                   // 000000019558: 7F284194
	v_exp_f32_e32 v149, v149                                   // 00000001955C: 7F2A4195
	v_exp_f32_e32 v150, v150                                   // 000000019560: 7F2C4196
	v_exp_f32_e32 v151, v151                                   // 000000019564: 7F2E4197
	v_exp_f32_e32 v152, v152                                   // 000000019568: 7F304198
	v_exp_f32_e32 v153, v153                                   // 00000001956C: 7F324199
	v_exp_f32_e32 v154, v154                                   // 000000019570: 7F34419A
	v_exp_f32_e32 v155, v155                                   // 000000019574: 7F36419B
	v_exp_f32_e32 v156, v156                                   // 000000019578: 7F38419C
	v_exp_f32_e32 v157, v157                                   // 00000001957C: 7F3A419D
	v_exp_f32_e32 v158, v158                                   // 000000019580: 7F3C419E
	v_exp_f32_e32 v159, v159                                   // 000000019584: 7F3E419F
	v_mul_f32_dpp v240, v252, v144 quad_perm:[0,0,0,0] row_mask:0xf bank_mask:0xf// 000000019588: 0BE120FA FF0000FC
	v_mul_f32_dpp v241, v252, v145 quad_perm:[1,1,1,1] row_mask:0xf bank_mask:0xf// 000000019590: 0BE322FA FF0055FC
	v_mul_f32_dpp v242, v252, v146 quad_perm:[2,2,2,2] row_mask:0xf bank_mask:0xf// 000000019598: 0BE524FA FF00AAFC
	v_mul_f32_dpp v243, v252, v147 quad_perm:[3,3,3,3] row_mask:0xf bank_mask:0xf// 0000000195A0: 0BE726FA FF00FFFC
	v_mul_f32_dpp v244, v253, v148 quad_perm:[0,0,0,0] row_mask:0xf bank_mask:0xf// 0000000195A8: 0BE928FA FF0000FD
	v_mul_f32_dpp v245, v253, v149 quad_perm:[1,1,1,1] row_mask:0xf bank_mask:0xf// 0000000195B0: 0BEB2AFA FF0055FD
	v_mul_f32_dpp v246, v253, v150 quad_perm:[2,2,2,2] row_mask:0xf bank_mask:0xf// 0000000195B8: 0BED2CFA FF00AAFD
	v_mul_f32_dpp v247, v253, v151 quad_perm:[3,3,3,3] row_mask:0xf bank_mask:0xf// 0000000195C0: 0BEF2EFA FF00FFFD
	v_mul_f32_dpp v248, v254, v152 quad_perm:[0,0,0,0] row_mask:0xf bank_mask:0xf// 0000000195C8: 0BF130FA FF0000FE
	v_mul_f32_dpp v249, v254, v153 quad_perm:[1,1,1,1] row_mask:0xf bank_mask:0xf// 0000000195D0: 0BF332FA FF0055FE
	v_mul_f32_dpp v250, v254, v154 quad_perm:[2,2,2,2] row_mask:0xf bank_mask:0xf// 0000000195D8: 0BF534FA FF00AAFE
	v_mul_f32_dpp v251, v254, v155 quad_perm:[3,3,3,3] row_mask:0xf bank_mask:0xf// 0000000195E0: 0BF736FA FF00FFFE
	v_mul_f32_dpp v252, v255, v156 quad_perm:[0,0,0,0] row_mask:0xf bank_mask:0xf// 0000000195E8: 0BF938FA FF0000FF
	v_mul_f32_dpp v253, v255, v157 quad_perm:[1,1,1,1] row_mask:0xf bank_mask:0xf// 0000000195F0: 0BFB3AFA FF0055FF
	v_mul_f32_dpp v254, v255, v158 quad_perm:[2,2,2,2] row_mask:0xf bank_mask:0xf// 0000000195F8: 0BFD3CFA FF00AAFF
	v_mul_f32_dpp v255, v255, v159 quad_perm:[3,3,3,3] row_mask:0xf bank_mask:0xf// 000000019600: 0BFF3EFA FF00FFFF
	v_mov_b32_e32 v48, 0x358637bd                              // 000000019608: 7E6002FF 358637BD
	v_max3_f32 v48, |v240|, |v241|, v48                        // 000000019610: D1D30330 04C3E3F0
	v_max3_f32 v48, |v242|, |v243|, v48                        // 000000019618: D1D30330 04C3E7F2
	v_max3_f32 v48, |v244|, |v245|, v48                        // 000000019620: D1D30330 04C3EBF4
	v_max3_f32 v48, |v246|, |v247|, v48                        // 000000019628: D1D30330 04C3EFF6
	v_max3_f32 v48, |v248|, |v249|, v48                        // 000000019630: D1D30330 04C3F3F8
	v_max3_f32 v48, |v250|, |v251|, v48                        // 000000019638: D1D30330 04C3F7FA
	v_max3_f32 v48, |v252|, |v253|, v48                        // 000000019640: D1D30330 04C3FBFC
	v_max3_f32 v48, |v254|, |v255|, v48                        // 000000019648: D1D30330 04C3FFFE
	ds_write_b32 v8, v48 offset:20992                          // 000000019650: D81A5200 00003008
	v_sub_f32_e32 v51, v13, v15                                // 000000019658: 04661F0D
	v_cndmask_b32_e64 v51, v51, 0, s[40:41]                    // 00000001965C: D1000033 00A10133
	v_mov_b32_e32 v13, v15                                     // 000000019664: 7E1A030F
	v_mul_f32_e32 v51, s64, v51                                // 000000019668: 0A666640
	v_exp_f32_e32 v51, v51                                     // 00000001966C: 7E664133
	s_waitcnt lgkmcnt(0)                                       // 000000019670: BF8CC07F
	s_barrier                                                  // 000000019674: BF8A0000
	ds_read_b32 v64, v7 offset:20992                           // 000000019678: D86C5200 40000007
	ds_read_b32 v65, v7 offset:21056                           // 000000019680: D86C5240 41000007
	ds_read_b32 v66, v7 offset:21120                           // 000000019688: D86C5280 42000007
	ds_read_b32 v67, v7 offset:21184                           // 000000019690: D86C52C0 43000007
	ds_read_b32 v68, v7 offset:21248                           // 000000019698: D86C5300 44000007
	ds_read_b32 v69, v7 offset:21312                           // 0000000196A0: D86C5340 45000007
	ds_read_b32 v70, v7 offset:21376                           // 0000000196A8: D86C5380 46000007
	ds_read_b32 v71, v7 offset:21440                           // 0000000196B0: D86C53C0 47000007
	ds_read_b32 v72, v7 offset:21504                           // 0000000196B8: D86C5400 48000007
	ds_read_b32 v73, v7 offset:21568                           // 0000000196C0: D86C5440 49000007
	ds_read_b32 v74, v7 offset:21632                           // 0000000196C8: D86C5480 4A000007
	ds_read_b32 v75, v7 offset:21696                           // 0000000196D0: D86C54C0 4B000007
	ds_read_b32 v76, v7 offset:21760                           // 0000000196D8: D86C5500 4C000007
	ds_read_b32 v77, v7 offset:21824                           // 0000000196E0: D86C5540 4D000007
	ds_read_b32 v78, v7 offset:21888                           // 0000000196E8: D86C5580 4E000007
	ds_read_b32 v79, v7 offset:21952                           // 0000000196F0: D86C55C0 4F000007
	v_mul_f32_e32 v40, v51, v40                                // 0000000196F8: 0A505133
	v_mov_b32_e32 v15, v144                                    // 0000000196FC: 7E1E0390
	v_add_f32_e32 v15, v145, v15                               // 000000019700: 021E1F91
	v_add_f32_e32 v15, v146, v15                               // 000000019704: 021E1F92
	v_add_f32_e32 v15, v147, v15                               // 000000019708: 021E1F93
	v_add_f32_e32 v15, v148, v15                               // 00000001970C: 021E1F94
	v_add_f32_e32 v15, v149, v15                               // 000000019710: 021E1F95
	v_add_f32_e32 v15, v150, v15                               // 000000019714: 021E1F96
	v_add_f32_e32 v15, v151, v15                               // 000000019718: 021E1F97
	v_add_f32_e32 v15, v152, v15                               // 00000001971C: 021E1F98
	v_add_f32_e32 v15, v153, v15                               // 000000019720: 021E1F99
	v_add_f32_e32 v15, v154, v15                               // 000000019724: 021E1F9A
	v_add_f32_e32 v15, v155, v15                               // 000000019728: 021E1F9B
	v_add_f32_e32 v15, v156, v15                               // 00000001972C: 021E1F9C
	v_add_f32_e32 v15, v157, v15                               // 000000019730: 021E1F9D
	v_add_f32_e32 v15, v158, v15                               // 000000019734: 021E1F9E
	v_add_f32_e32 v15, v159, v15                               // 000000019738: 021E1F9F
	v_add_f32_e32 v40, v15, v40                                // 00000001973C: 0250510F
	s_waitcnt lgkmcnt(0)                                       // 000000019740: BF8CC07F
	v_max3_f32 v48, |v64|, |v65|, v48                          // 000000019744: D1D30330 04C28340
	v_max3_f32 v48, |v66|, |v67|, v48                          // 00000001974C: D1D30330 04C28742
	v_max3_f32 v48, |v68|, |v69|, v48                          // 000000019754: D1D30330 04C28B44
	v_max3_f32 v48, |v70|, |v71|, v48                          // 00000001975C: D1D30330 04C28F46
	v_max3_f32 v48, |v72|, |v73|, v48                          // 000000019764: D1D30330 04C29348
	v_max3_f32 v48, |v74|, |v75|, v48                          // 00000001976C: D1D30330 04C2974A
	v_max3_f32 v48, |v76|, |v77|, v48                          // 000000019774: D1D30330 04C29B4C
	v_max3_f32 v48, |v78|, |v79|, v48                          // 00000001977C: D1D30330 04C29F4E
	s_nop 2                                                    // 000000019784: BF800002
	v_rcp_f32_e32 v48, v48                                     // 000000019788: 7E604530
	s_nop 1                                                    // 00000001978C: BF800001
	v_mul_f32_e32 v48, 0x42fe0000, v48                         // 000000019790: 0A6060FF 42FE0000
	v_mul_f32_e32 v144, v48, v240                              // 000000019798: 0B21E130
	v_mul_f32_e32 v145, v48, v241                              // 00000001979C: 0B23E330
	v_mul_f32_e32 v146, v48, v242                              // 0000000197A0: 0B25E530
	v_mul_f32_e32 v147, v48, v243                              // 0000000197A4: 0B27E730
	v_mul_f32_e32 v148, v48, v244                              // 0000000197A8: 0B29E930
	v_mul_f32_e32 v149, v48, v245                              // 0000000197AC: 0B2BEB30
	v_mul_f32_e32 v150, v48, v246                              // 0000000197B0: 0B2DED30
	v_mul_f32_e32 v151, v48, v247                              // 0000000197B4: 0B2FEF30
	v_mul_f32_e32 v152, v48, v248                              // 0000000197B8: 0B31F130
	v_mul_f32_e32 v153, v48, v249                              // 0000000197BC: 0B33F330
	v_mul_f32_e32 v154, v48, v250                              // 0000000197C0: 0B35F530
	v_mul_f32_e32 v155, v48, v251                              // 0000000197C4: 0B37F730
	v_mul_f32_e32 v156, v48, v252                              // 0000000197C8: 0B39F930
	v_mul_f32_e32 v157, v48, v253                              // 0000000197CC: 0B3BFB30
	v_mul_f32_e32 v158, v48, v254                              // 0000000197D0: 0B3DFD30
	v_mul_f32_e32 v159, v48, v255                              // 0000000197D4: 0B3FFF30
	v_cvt_i32_f32_e32 v144, v144                               // 0000000197D8: 7F201190
	v_cvt_i32_f32_e32 v145, v145                               // 0000000197DC: 7F221191
	v_cvt_i32_f32_e32 v146, v146                               // 0000000197E0: 7F241192
	v_cvt_i32_f32_e32 v147, v147                               // 0000000197E4: 7F261193
	v_cvt_i32_f32_e32 v148, v148                               // 0000000197E8: 7F281194
	v_cvt_i32_f32_e32 v149, v149                               // 0000000197EC: 7F2A1195
	v_cvt_i32_f32_e32 v150, v150                               // 0000000197F0: 7F2C1196
	v_cvt_i32_f32_e32 v151, v151                               // 0000000197F4: 7F2E1197
	v_cvt_i32_f32_e32 v152, v152                               // 0000000197F8: 7F301198
	v_cvt_i32_f32_e32 v153, v153                               // 0000000197FC: 7F321199
	v_cvt_i32_f32_e32 v154, v154                               // 000000019800: 7F34119A
	v_cvt_i32_f32_e32 v155, v155                               // 000000019804: 7F36119B
	v_cvt_i32_f32_e32 v156, v156                               // 000000019808: 7F38119C
	v_cvt_i32_f32_e32 v157, v157                               // 00000001980C: 7F3A119D
	v_cvt_i32_f32_e32 v158, v158                               // 000000019810: 7F3C119E
	v_cvt_i32_f32_e32 v159, v159                               // 000000019814: 7F3E119F
	v_perm_b32 v144, v145, v144, s53                           // 000000019818: D1ED0090 00D72191
	v_perm_b32 v144, v146, v144, s54                           // 000000019820: D1ED0090 00DB2192
	v_perm_b32 v144, v147, v144, s55                           // 000000019828: D1ED0090 00DF2193
	v_perm_b32 v145, v149, v148, s53                           // 000000019830: D1ED0091 00D72995
	v_perm_b32 v145, v150, v145, s54                           // 000000019838: D1ED0091 00DB2396
	v_perm_b32 v145, v151, v145, s55                           // 000000019840: D1ED0091 00DF2397
	v_perm_b32 v146, v153, v152, s53                           // 000000019848: D1ED0092 00D73199
	v_perm_b32 v146, v154, v146, s54                           // 000000019850: D1ED0092 00DB259A
	v_perm_b32 v146, v155, v146, s55                           // 000000019858: D1ED0092 00DF259B
	v_perm_b32 v147, v157, v156, s53                           // 000000019860: D1ED0093 00D7399D
	v_perm_b32 v147, v158, v147, s54                           // 000000019868: D1ED0093 00DB279E
	v_perm_b32 v147, v159, v147, s55                           // 000000019870: D1ED0093 00DF279F
	ds_write_b32 v10, v144 offset:33280                        // 000000019878: D81A8200 0000900A
	ds_write_b32 v10, v145 offset:34304                        // 000000019880: D81A8600 0000910A
	ds_write_b32 v10, v146 offset:35328                        // 000000019888: D81A8A00 0000920A
	ds_write_b32 v10, v147 offset:36352                        // 000000019890: D81A8E00 0000930A
	v_add_f32_e32 v224, v224, v192                             // 000000019898: 03C181E0
	v_add_f32_e32 v225, v225, v193                             // 00000001989C: 03C383E1
	v_add_f32_e32 v226, v226, v194                             // 0000000198A0: 03C585E2
	v_add_f32_e32 v227, v227, v195                             // 0000000198A4: 03C787E3
	v_add_f32_e32 v228, v228, v196                             // 0000000198A8: 03C989E4
	v_add_f32_e32 v229, v229, v197                             // 0000000198AC: 03CB8BE5
	v_add_f32_e32 v230, v230, v198                             // 0000000198B0: 03CD8DE6
	v_add_f32_e32 v231, v231, v199                             // 0000000198B4: 03CF8FE7
	v_rcp_f32_e32 v46, v48                                     // 0000000198B8: 7E5C4530
	s_waitcnt lgkmcnt(0)                                       // 0000000198BC: BF8CC07F
	s_barrier                                                  // 0000000198C0: BF8A0000
	ds_read_b64 v[144:145], v9 offset:33280                    // 0000000198C4: D8EC8200 90000009
	ds_read_b64 v[146:147], v9 offset:33408                    // 0000000198CC: D8EC8280 92000009
	ds_read_b64 v[148:149], v9 offset:34304                    // 0000000198D4: D8EC8600 94000009
	ds_read_b64 v[150:151], v9 offset:34432                    // 0000000198DC: D8EC8680 96000009
	ds_read_b64 v[152:153], v9 offset:35328                    // 0000000198E4: D8EC8A00 98000009
	ds_read_b64 v[154:155], v9 offset:35456                    // 0000000198EC: D8EC8A80 9A000009
	ds_read_b64 v[156:157], v9 offset:36352                    // 0000000198F4: D8EC8E00 9C000009
	ds_read_b64 v[158:159], v9 offset:36480                    // 0000000198FC: D8EC8E80 9E000009
	s_waitcnt vmcnt(15)                                        // 000000019904: BF8C0F7F
	v_mfma_i32_16x16x32_i8 v[176:179], a[96:97], v[112:113], 0 // 000000019908: D3D700B0 0A02E160
	buffer_load_dwordx4 a[80:83], v30, s[20:23], 0 offen offset:1024// 000000019910: E05C1400 8085501E
	v_mfma_i32_16x16x32_i8 v[176:179], a[98:99], v[114:115], v[176:179]// 000000019918: D3D700B0 0EC2E562
	v_mfma_i32_16x16x32_i8 v[176:179], a[100:101], v[116:117], v[176:179]// 000000019920: D3D700B0 0EC2E964
	v_mfma_i32_16x16x32_i8 v[176:179], a[102:103], v[118:119], v[176:179]// 000000019928: D3D700B0 0EC2ED66
	v_mfma_i32_16x16x32_i8 v[176:179], a[104:105], v[120:121], v[176:179]// 000000019930: D3D700B0 0EC2F168
	buffer_load_dwordx4 a[84:87], v31, s[20:23], 0 offen offset:1024// 000000019938: E05C1400 8085541F
	v_mfma_i32_16x16x32_i8 v[176:179], a[106:107], v[122:123], v[176:179]// 000000019940: D3D700B0 0EC2F56A
	v_mfma_i32_16x16x32_i8 v[176:179], a[108:109], v[124:125], v[176:179]// 000000019948: D3D700B0 0EC2F96C
	v_mfma_i32_16x16x32_i8 v[176:179], a[110:111], v[126:127], v[176:179]// 000000019950: D3D700B0 0EC2FD6E
	v_mfma_i32_16x16x32_i8 v[180:183], a[112:113], v[112:113], 0// 000000019958: D3D700B4 0A02E170
	buffer_load_dwordx4 a[88:91], v32, s[20:23], 0 offen offset:1024// 000000019960: E05C1400 80855820
	v_mfma_i32_16x16x32_i8 v[180:183], a[114:115], v[114:115], v[180:183]// 000000019968: D3D700B4 0ED2E572
	v_mfma_i32_16x16x32_i8 v[180:183], a[116:117], v[116:117], v[180:183]// 000000019970: D3D700B4 0ED2E974
	v_mfma_i32_16x16x32_i8 v[180:183], a[118:119], v[118:119], v[180:183]// 000000019978: D3D700B4 0ED2ED76
	v_mfma_i32_16x16x32_i8 v[180:183], a[120:121], v[120:121], v[180:183]// 000000019980: D3D700B4 0ED2F178
	buffer_load_dwordx4 a[92:95], v33, s[20:23], 0 offen offset:1024// 000000019988: E05C1400 80855C21
	v_mfma_i32_16x16x32_i8 v[180:183], a[122:123], v[122:123], v[180:183]// 000000019990: D3D700B4 0ED2F57A
	v_mfma_i32_16x16x32_i8 v[180:183], a[124:125], v[124:125], v[180:183]// 000000019998: D3D700B4 0ED2F97C
	s_lshr_b32 s57, s70, 4                                     // 0000000199A0: 8F398446
	s_add_u32 s57, 48, s57                                     // 0000000199A4: 803939B0
	v_mfma_i32_16x16x32_i8 v[180:183], a[126:127], v[126:127], v[180:183]// 0000000199A8: D3D700B4 0ED2FD7E
	s_cmp_ge_u32 s57, s73                                      // 0000000199B0: BF094939
	s_cselect_b32 s56, 0, s56                                  // 0000000199B4: 85383880
	v_mfma_i32_16x16x32_i8 v[184:187], a[96:97], v[128:129], 0 // 0000000199B8: D3D700B8 0A030160
	v_mfma_i32_16x16x32_i8 v[184:187], a[98:99], v[130:131], v[184:187]// 0000000199C0: D3D700B8 0EE30562
	v_mfma_i32_16x16x32_i8 v[184:187], a[100:101], v[132:133], v[184:187]// 0000000199C8: D3D700B8 0EE30964
	v_mfma_i32_16x16x32_i8 v[184:187], a[102:103], v[134:135], v[184:187]// 0000000199D0: D3D700B8 0EE30D66
	v_mfma_i32_16x16x32_i8 v[184:187], a[104:105], v[136:137], v[184:187]// 0000000199D8: D3D700B8 0EE31168
	v_mfma_i32_16x16x32_i8 v[184:187], a[106:107], v[138:139], v[184:187]// 0000000199E0: D3D700B8 0EE3156A
	v_mfma_i32_16x16x32_i8 v[184:187], a[108:109], v[140:141], v[184:187]// 0000000199E8: D3D700B8 0EE3196C
	v_mfma_i32_16x16x32_i8 v[184:187], a[110:111], v[142:143], v[184:187]// 0000000199F0: D3D700B8 0EE31D6E
	v_mfma_i32_16x16x32_i8 v[188:191], a[112:113], v[128:129], 0// 0000000199F8: D3D700BC 0A030170
	v_mfma_i32_16x16x32_i8 v[188:191], a[114:115], v[130:131], v[188:191]// 000000019A00: D3D700BC 0EF30572
	v_mfma_i32_16x16x32_i8 v[188:191], a[116:117], v[132:133], v[188:191]// 000000019A08: D3D700BC 0EF30974
	v_mfma_i32_16x16x32_i8 v[188:191], a[118:119], v[134:135], v[188:191]// 000000019A10: D3D700BC 0EF30D76
	v_mfma_i32_16x16x32_i8 v[188:191], a[120:121], v[136:137], v[188:191]// 000000019A18: D3D700BC 0EF31178
	v_mfma_i32_16x16x32_i8 v[188:191], a[122:123], v[138:139], v[188:191]// 000000019A20: D3D700BC 0EF3157A
	v_mfma_i32_16x16x32_i8 v[188:191], a[124:125], v[140:141], v[188:191]// 000000019A28: D3D700BC 0EF3197C
	v_mfma_i32_16x16x32_i8 v[188:191], a[126:127], v[142:143], v[188:191]// 000000019A30: D3D700BC 0EF31D7E
	v_mfma_i32_16x16x32_i8 v[192:195], a[96:97], v[144:145], 0 // 000000019A38: D3D700C0 0A032160
	v_mfma_i32_16x16x32_i8 v[192:195], a[98:99], v[146:147], v[192:195]// 000000019A40: D3D700C0 0F032562
	v_mfma_i32_16x16x32_i8 v[192:195], a[100:101], v[148:149], v[192:195]// 000000019A48: D3D700C0 0F032964
	v_mfma_i32_16x16x32_i8 v[192:195], a[102:103], v[150:151], v[192:195]// 000000019A50: D3D700C0 0F032D66
	v_mfma_i32_16x16x32_i8 v[192:195], a[104:105], v[152:153], v[192:195]// 000000019A58: D3D700C0 0F033168
	v_mfma_i32_16x16x32_i8 v[192:195], a[106:107], v[154:155], v[192:195]// 000000019A60: D3D700C0 0F03356A
	v_mfma_i32_16x16x32_i8 v[192:195], a[108:109], v[156:157], v[192:195]// 000000019A68: D3D700C0 0F03396C
	v_mfma_i32_16x16x32_i8 v[192:195], a[110:111], v[158:159], v[192:195]// 000000019A70: D3D700C0 0F033D6E
	v_mfma_i32_16x16x32_i8 v[196:199], a[112:113], v[144:145], 0// 000000019A78: D3D700C4 0A032170
	v_mfma_i32_16x16x32_i8 v[196:199], a[114:115], v[146:147], v[196:199]// 000000019A80: D3D700C4 0F132572
	v_mfma_i32_16x16x32_i8 v[196:199], a[116:117], v[148:149], v[196:199]// 000000019A88: D3D700C4 0F132974
	v_mfma_i32_16x16x32_i8 v[196:199], a[118:119], v[150:151], v[196:199]// 000000019A90: D3D700C4 0F132D76
	v_mfma_i32_16x16x32_i8 v[196:199], a[120:121], v[152:153], v[196:199]// 000000019A98: D3D700C4 0F133178
	v_mfma_i32_16x16x32_i8 v[196:199], a[122:123], v[154:155], v[196:199]// 000000019AA0: D3D700C4 0F13357A
	v_mfma_i32_16x16x32_i8 v[196:199], a[124:125], v[156:157], v[196:199]// 000000019AA8: D3D700C4 0F13397C
	v_mfma_i32_16x16x32_i8 v[196:199], a[126:127], v[158:159], v[196:199]// 000000019AB0: D3D700C4 0F133D7E
	v_add_u32_e32 v1, s56, v1                                  // 000000019AB8: 68020238
	s_addk_i32 s70, 0x100                                      // 000000019ABC: B7460100
	s_cmp_lt_i32 s70, s71                                      // 000000019AC0: BF044746
	s_cbranch_scc0 label_4DEF                                  // 000000019AC4: BF84EFBD
	s_branch label_4DF2                                        // 000000019AC8: BF82EFBF

0000000000019acc <label_5E33>:
	s_lshr_b32 s60, s71, 4                                     // 000000019ACC: 8F3C8447
	s_cmp_eq_i32 s60, s73                                      // 000000019AD0: BF00493C
	s_cbranch_scc1 label_708A                                  // 000000019AD4: BF851254
	s_lshr_b32 s60, s71, 8                                     // 000000019AD8: 8F3C8847
	s_and_b32 s60, s60, 1                                      // 000000019ADC: 863C813C
	s_cmp_eq_i32 s60, 1                                        // 000000019AE0: BF00813C
	s_cbranch_scc1 label_6762                                  // 000000019AE4: BF850928
	s_waitcnt vmcnt(8) lgkmcnt(0)                              // 000000019AE8: BF8C0078
	s_barrier                                                  // 000000019AEC: BF8A0000
	v_mfma_i32_16x16x32_i8 v[112:115], a[0:1], v[80:81], 0     // 000000019AF0: D3D70070 0A02A100
	v_mfma_i32_16x16x32_i8 v[112:115], a[2:3], v[82:83], v[112:115]// 000000019AF8: D3D70070 0DC2A502
	v_mfma_i32_16x16x32_i8 v[112:115], a[4:5], v[84:85], v[112:115]// 000000019B00: D3D70070 0DC2A904
	v_mfma_i32_16x16x32_i8 v[112:115], a[6:7], v[86:87], v[112:115]// 000000019B08: D3D70070 0DC2AD06
	v_mfma_i32_16x16x32_i8 v[116:119], a[8:9], v[80:81], 0     // 000000019B10: D3D70074 0A02A108
	v_mfma_i32_16x16x32_i8 v[116:119], a[10:11], v[82:83], v[116:119]// 000000019B18: D3D70074 0DD2A50A
	v_mfma_i32_16x16x32_i8 v[116:119], a[12:13], v[84:85], v[116:119]// 000000019B20: D3D70074 0DD2A90C
	v_mfma_i32_16x16x32_i8 v[116:119], a[14:15], v[86:87], v[116:119]// 000000019B28: D3D70074 0DD2AD0E
	v_mfma_i32_16x16x32_i8 v[120:123], a[16:17], v[80:81], 0   // 000000019B30: D3D70078 0A02A110
	v_mfma_i32_16x16x32_i8 v[120:123], a[18:19], v[82:83], v[120:123]// 000000019B38: D3D70078 0DE2A512
	v_mfma_i32_16x16x32_i8 v[120:123], a[20:21], v[84:85], v[120:123]// 000000019B40: D3D70078 0DE2A914
	v_mfma_i32_16x16x32_i8 v[120:123], a[22:23], v[86:87], v[120:123]// 000000019B48: D3D70078 0DE2AD16
	v_mfma_i32_16x16x32_i8 v[124:127], a[24:25], v[80:81], 0   // 000000019B50: D3D7007C 0A02A118
	v_mfma_i32_16x16x32_i8 v[124:127], a[26:27], v[82:83], v[124:127]// 000000019B58: D3D7007C 0DF2A51A
	v_mfma_i32_16x16x32_i8 v[124:127], a[28:29], v[84:85], v[124:127]// 000000019B60: D3D7007C 0DF2A91C
	v_mfma_i32_16x16x32_i8 v[124:127], a[30:31], v[86:87], v[124:127]// 000000019B68: D3D7007C 0DF2AD1E
	v_mfma_i32_16x16x32_i8 v[128:131], a[0:1], v[88:89], 0     // 000000019B70: D3D70080 0A02B100
	v_mfma_i32_16x16x32_i8 v[128:131], a[2:3], v[90:91], v[128:131]// 000000019B78: D3D70080 0E02B502
	v_mfma_i32_16x16x32_i8 v[128:131], a[4:5], v[92:93], v[128:131]// 000000019B80: D3D70080 0E02B904
	v_mfma_i32_16x16x32_i8 v[128:131], a[6:7], v[94:95], v[128:131]// 000000019B88: D3D70080 0E02BD06
	v_mfma_i32_16x16x32_i8 v[132:135], a[8:9], v[88:89], 0     // 000000019B90: D3D70084 0A02B108
	v_mfma_i32_16x16x32_i8 v[132:135], a[10:11], v[90:91], v[132:135]// 000000019B98: D3D70084 0E12B50A
	v_mfma_i32_16x16x32_i8 v[132:135], a[12:13], v[92:93], v[132:135]// 000000019BA0: D3D70084 0E12B90C
	v_mfma_i32_16x16x32_i8 v[132:135], a[14:15], v[94:95], v[132:135]// 000000019BA8: D3D70084 0E12BD0E
	v_mfma_i32_16x16x32_i8 v[136:139], a[16:17], v[88:89], 0   // 000000019BB0: D3D70088 0A02B110
	v_mfma_i32_16x16x32_i8 v[136:139], a[18:19], v[90:91], v[136:139]// 000000019BB8: D3D70088 0E22B512
	v_mfma_i32_16x16x32_i8 v[136:139], a[20:21], v[92:93], v[136:139]// 000000019BC0: D3D70088 0E22B914
	v_mfma_i32_16x16x32_i8 v[136:139], a[22:23], v[94:95], v[136:139]// 000000019BC8: D3D70088 0E22BD16
	v_mfma_i32_16x16x32_i8 v[140:143], a[24:25], v[88:89], 0   // 000000019BD0: D3D7008C 0A02B118
	v_mfma_i32_16x16x32_i8 v[140:143], a[26:27], v[90:91], v[140:143]// 000000019BD8: D3D7008C 0E32B51A
	v_mfma_i32_16x16x32_i8 v[140:143], a[28:29], v[92:93], v[140:143]// 000000019BE0: D3D7008C 0E32B91C
	v_mfma_i32_16x16x32_i8 v[140:143], a[30:31], v[94:95], v[140:143]// 000000019BE8: D3D7008C 0E32BD1E
	v_mfma_i32_16x16x32_i8 v[144:147], a[0:1], v[96:97], 0     // 000000019BF0: D3D70090 0A02C100
	v_mfma_i32_16x16x32_i8 v[144:147], a[2:3], v[98:99], v[144:147]// 000000019BF8: D3D70090 0E42C502
	v_mfma_i32_16x16x32_i8 v[144:147], a[4:5], v[100:101], v[144:147]// 000000019C00: D3D70090 0E42C904
	v_mfma_i32_16x16x32_i8 v[144:147], a[6:7], v[102:103], v[144:147]// 000000019C08: D3D70090 0E42CD06
	v_mfma_i32_16x16x32_i8 v[148:151], a[8:9], v[96:97], 0     // 000000019C10: D3D70094 0A02C108
	v_mfma_i32_16x16x32_i8 v[148:151], a[10:11], v[98:99], v[148:151]// 000000019C18: D3D70094 0E52C50A
	v_mfma_i32_16x16x32_i8 v[148:151], a[12:13], v[100:101], v[148:151]// 000000019C20: D3D70094 0E52C90C
	v_mfma_i32_16x16x32_i8 v[148:151], a[14:15], v[102:103], v[148:151]// 000000019C28: D3D70094 0E52CD0E
	v_mfma_i32_16x16x32_i8 v[152:155], a[16:17], v[96:97], 0   // 000000019C30: D3D70098 0A02C110
	v_mfma_i32_16x16x32_i8 v[152:155], a[18:19], v[98:99], v[152:155]// 000000019C38: D3D70098 0E62C512
	v_mfma_i32_16x16x32_i8 v[152:155], a[20:21], v[100:101], v[152:155]// 000000019C40: D3D70098 0E62C914
	v_mfma_i32_16x16x32_i8 v[152:155], a[22:23], v[102:103], v[152:155]// 000000019C48: D3D70098 0E62CD16
	v_mfma_i32_16x16x32_i8 v[156:159], a[24:25], v[96:97], 0   // 000000019C50: D3D7009C 0A02C118
	v_mfma_i32_16x16x32_i8 v[156:159], a[26:27], v[98:99], v[156:159]// 000000019C58: D3D7009C 0E72C51A
	v_mfma_i32_16x16x32_i8 v[156:159], a[28:29], v[100:101], v[156:159]// 000000019C60: D3D7009C 0E72C91C
	v_mfma_i32_16x16x32_i8 v[156:159], a[30:31], v[102:103], v[156:159]// 000000019C68: D3D7009C 0E72CD1E
	v_mov_b32_dpp v64, v42 row_shr:4 row_mask:0xf bank_mask:0xf// 000000019C70: 7E8002FA FF01142A
	v_mov_b32_dpp v65, v42 row_shl:4 row_mask:0xf bank_mask:0xf// 000000019C78: 7E8202FA FF01042A
	v_cndmask_b32_e64 v248, v42, v64, s[44:45]                 // 000000019C80: D10000F8 00B2812A
	v_cndmask_b32_e64 v249, v65, v42, s[44:45]                 // 000000019C88: D10000F9 00B25541
	v_mov_b32_dpp v64, v248 row_shr:8 row_mask:0xf bank_mask:0xf// 000000019C90: 7E8002FA FF0118F8
	v_mov_b32_dpp v65, v248 row_shl:8 row_mask:0xf bank_mask:0xf// 000000019C98: 7E8202FA FF0108F8
	v_mov_b32_dpp v66, v249 row_shr:8 row_mask:0xf bank_mask:0xf// 000000019CA0: 7E8402FA FF0118F9
	v_mov_b32_dpp v67, v249 row_shl:8 row_mask:0xf bank_mask:0xf// 000000019CA8: 7E8602FA FF0108F9
	v_mov_b32_e32 v68, v248                                    // 000000019CB0: 7E8803F8
	v_mov_b32_e32 v69, v249                                    // 000000019CB4: 7E8A03F9
	v_cndmask_b32_e64 v248, v68, v64, s[42:43]                 // 000000019CB8: D10000F8 00AA8144
	v_cndmask_b32_e64 v250, v68, v65, s[78:79]                 // 000000019CC0: D10000FA 013A8344
	v_cndmask_b32_e64 v249, v69, v66, s[42:43]                 // 000000019CC8: D10000F9 00AA8545
	v_cndmask_b32_e64 v251, v69, v67, s[78:79]                 // 000000019CD0: D10000FB 013A8745
	v_mov_b32_dpp v64, v57 row_shr:4 row_mask:0xf bank_mask:0xf// 000000019CD8: 7E8002FA FF011439
	v_mov_b32_dpp v65, v57 row_shl:4 row_mask:0xf bank_mask:0xf// 000000019CE0: 7E8202FA FF010439
	v_cndmask_b32_e64 v252, v57, v64, s[44:45]                 // 000000019CE8: D10000FC 00B28139
	v_cndmask_b32_e64 v253, v65, v57, s[44:45]                 // 000000019CF0: D10000FD 00B27341
	v_mov_b32_dpp v64, v252 row_shr:8 row_mask:0xf bank_mask:0xf// 000000019CF8: 7E8002FA FF0118FC
	v_mov_b32_dpp v65, v252 row_shl:8 row_mask:0xf bank_mask:0xf// 000000019D00: 7E8202FA FF0108FC
	v_mov_b32_dpp v66, v253 row_shr:8 row_mask:0xf bank_mask:0xf// 000000019D08: 7E8402FA FF0118FD
	v_mov_b32_dpp v67, v253 row_shl:8 row_mask:0xf bank_mask:0xf// 000000019D10: 7E8602FA FF0108FD
	v_mov_b32_e32 v68, v252                                    // 000000019D18: 7E8803FC
	v_mov_b32_e32 v69, v253                                    // 000000019D1C: 7E8A03FD
	v_cndmask_b32_e64 v252, v68, v64, s[42:43]                 // 000000019D20: D10000FC 00AA8144
	v_cndmask_b32_e64 v254, v68, v65, s[78:79]                 // 000000019D28: D10000FE 013A8344
	v_cndmask_b32_e64 v253, v69, v66, s[42:43]                 // 000000019D30: D10000FD 00AA8545
	v_cndmask_b32_e64 v255, v69, v67, s[78:79]                 // 000000019D38: D10000FF 013A8745
	v_cvt_f32_i32_e32 v112, v112                               // 000000019D40: 7EE00B70
	v_cvt_f32_i32_e32 v113, v113                               // 000000019D44: 7EE20B71
	v_cvt_f32_i32_e32 v114, v114                               // 000000019D48: 7EE40B72
	v_cvt_f32_i32_e32 v115, v115                               // 000000019D4C: 7EE60B73
	v_cvt_f32_i32_e32 v116, v116                               // 000000019D50: 7EE80B74
	v_cvt_f32_i32_e32 v117, v117                               // 000000019D54: 7EEA0B75
	v_cvt_f32_i32_e32 v118, v118                               // 000000019D58: 7EEC0B76
	v_cvt_f32_i32_e32 v119, v119                               // 000000019D5C: 7EEE0B77
	v_cvt_f32_i32_e32 v120, v120                               // 000000019D60: 7EF00B78
	v_cvt_f32_i32_e32 v121, v121                               // 000000019D64: 7EF20B79
	v_cvt_f32_i32_e32 v122, v122                               // 000000019D68: 7EF40B7A
	v_cvt_f32_i32_e32 v123, v123                               // 000000019D6C: 7EF60B7B
	v_cvt_f32_i32_e32 v124, v124                               // 000000019D70: 7EF80B7C
	v_cvt_f32_i32_e32 v125, v125                               // 000000019D74: 7EFA0B7D
	v_cvt_f32_i32_e32 v126, v126                               // 000000019D78: 7EFC0B7E
	v_cvt_f32_i32_e32 v127, v127                               // 000000019D7C: 7EFE0B7F
	v_mul_f32_e32 v112, v18, v112                              // 000000019D80: 0AE0E112
	v_mul_f32_e32 v113, v18, v113                              // 000000019D84: 0AE2E312
	v_mul_f32_e32 v114, v18, v114                              // 000000019D88: 0AE4E512
	v_mul_f32_e32 v115, v18, v115                              // 000000019D8C: 0AE6E712
	v_mul_f32_e32 v116, v18, v116                              // 000000019D90: 0AE8E912
	v_mul_f32_e32 v117, v18, v117                              // 000000019D94: 0AEAEB12
	v_mul_f32_e32 v118, v18, v118                              // 000000019D98: 0AECED12
	v_mul_f32_e32 v119, v18, v119                              // 000000019D9C: 0AEEEF12
	v_mul_f32_e32 v120, v18, v120                              // 000000019DA0: 0AF0F112
	v_mul_f32_e32 v121, v18, v121                              // 000000019DA4: 0AF2F312
	v_mul_f32_e32 v122, v18, v122                              // 000000019DA8: 0AF4F512
	v_mul_f32_e32 v123, v18, v123                              // 000000019DAC: 0AF6F712
	v_mul_f32_e32 v124, v18, v124                              // 000000019DB0: 0AF8F912
	v_mul_f32_e32 v125, v18, v125                              // 000000019DB4: 0AFAFB12
	v_mul_f32_e32 v126, v18, v126                              // 000000019DB8: 0AFCFD12
	v_mul_f32_e32 v127, v18, v127                              // 000000019DBC: 0AFEFF12
	v_mul_f32_dpp v112, v248, v112 quad_perm:[0,0,0,0] row_mask:0xf bank_mask:0xf// 000000019DC0: 0AE0E0FA FF0000F8
	v_mul_f32_dpp v113, v248, v113 quad_perm:[1,1,1,1] row_mask:0xf bank_mask:0xf// 000000019DC8: 0AE2E2FA FF0055F8
	v_mul_f32_dpp v114, v248, v114 quad_perm:[2,2,2,2] row_mask:0xf bank_mask:0xf// 000000019DD0: 0AE4E4FA FF00AAF8
	v_mul_f32_dpp v115, v248, v115 quad_perm:[3,3,3,3] row_mask:0xf bank_mask:0xf// 000000019DD8: 0AE6E6FA FF00FFF8
	v_mul_f32_dpp v116, v249, v116 quad_perm:[0,0,0,0] row_mask:0xf bank_mask:0xf// 000000019DE0: 0AE8E8FA FF0000F9
	v_mul_f32_dpp v117, v249, v117 quad_perm:[1,1,1,1] row_mask:0xf bank_mask:0xf// 000000019DE8: 0AEAEAFA FF0055F9
	v_mul_f32_dpp v118, v249, v118 quad_perm:[2,2,2,2] row_mask:0xf bank_mask:0xf// 000000019DF0: 0AECECFA FF00AAF9
	v_mul_f32_dpp v119, v249, v119 quad_perm:[3,3,3,3] row_mask:0xf bank_mask:0xf// 000000019DF8: 0AEEEEFA FF00FFF9
	v_mul_f32_dpp v120, v250, v120 quad_perm:[0,0,0,0] row_mask:0xf bank_mask:0xf// 000000019E00: 0AF0F0FA FF0000FA
	v_mul_f32_dpp v121, v250, v121 quad_perm:[1,1,1,1] row_mask:0xf bank_mask:0xf// 000000019E08: 0AF2F2FA FF0055FA
	v_mul_f32_dpp v122, v250, v122 quad_perm:[2,2,2,2] row_mask:0xf bank_mask:0xf// 000000019E10: 0AF4F4FA FF00AAFA
	v_mul_f32_dpp v123, v250, v123 quad_perm:[3,3,3,3] row_mask:0xf bank_mask:0xf// 000000019E18: 0AF6F6FA FF00FFFA
	v_mul_f32_dpp v124, v251, v124 quad_perm:[0,0,0,0] row_mask:0xf bank_mask:0xf// 000000019E20: 0AF8F8FA FF0000FB
	v_mul_f32_dpp v125, v251, v125 quad_perm:[1,1,1,1] row_mask:0xf bank_mask:0xf// 000000019E28: 0AFAFAFA FF0055FB
	v_mul_f32_dpp v126, v251, v126 quad_perm:[2,2,2,2] row_mask:0xf bank_mask:0xf// 000000019E30: 0AFCFCFA FF00AAFB
	v_mul_f32_dpp v127, v251, v127 quad_perm:[3,3,3,3] row_mask:0xf bank_mask:0xf// 000000019E38: 0AFEFEFA FF00FFFB
	s_cmp_le_i32 s90, s89                                      // 000000019E40: BF05595A
	s_cbranch_scc1 label_5F83                                  // 000000019E44: BF850071
	v_mov_b32_e32 v66, 0xff800000                              // 000000019E48: 7E8402FF FF800000
	s_mov_b32 s60, s90                                         // 000000019E50: BEBC005A
	s_add_u32 s61, s89, 0xff                                   // 000000019E54: 803DFF59 000000FF
	v_mov_b32_e32 v64, s61                                     // 000000019E5C: 7E80023D
	v_lshrrev_b32_e32 v240, 4, v0                              // 000000019E60: 21E00084
	v_mul_i32_i24_e32 v240, 4, v240                            // 000000019E64: 0DE1E084
	v_add_u32_e32 v240, s60, v240                              // 000000019E68: 69E1E03C
	s_mov_b32 s61, 0                                           // 000000019E6C: BEBD0080
	s_mul_i32 s60, 16, s7                                      // 000000019E70: 923C0790
	v_sub_u32_e64 v240, v240, s61                              // 000000019E74: D13500F0 00007BF0
	v_add_u32_e32 v240, s60, v240                              // 000000019E7C: 69E1E03C
	v_add_u32_e32 v241, 1, v240                                // 000000019E80: 69E3E081
	v_add_u32_e32 v242, 2, v240                                // 000000019E84: 69E5E082
	v_add_u32_e32 v243, 3, v240                                // 000000019E88: 69E7E083
	v_cmp_le_u32_e64 s[40:41], v240, v64                       // 000000019E8C: D0CB0028 000281F0
	v_add_u32_e32 v240, 64, v240                               // 000000019E94: 69E1E0C0
	s_nop 0                                                    // 000000019E98: BF800000
	v_cndmask_b32_e64 v112, v66, v112, s[40:41]                // 000000019E9C: D1000070 00A2E142
	v_cmp_le_u32_e64 s[40:41], v241, v64                       // 000000019EA4: D0CB0028 000281F1
	v_add_u32_e32 v241, 64, v241                               // 000000019EAC: 69E3E2C0
	s_nop 0                                                    // 000000019EB0: BF800000
	v_cndmask_b32_e64 v113, v66, v113, s[40:41]                // 000000019EB4: D1000071 00A2E342
	v_cmp_le_u32_e64 s[40:41], v242, v64                       // 000000019EBC: D0CB0028 000281F2
	v_add_u32_e32 v242, 64, v242                               // 000000019EC4: 69E5E4C0
	s_nop 0                                                    // 000000019EC8: BF800000
	v_cndmask_b32_e64 v114, v66, v114, s[40:41]                // 000000019ECC: D1000072 00A2E542
	v_cmp_le_u32_e64 s[40:41], v243, v64                       // 000000019ED4: D0CB0028 000281F3
	v_add_u32_e32 v243, 64, v243                               // 000000019EDC: 69E7E6C0
	s_nop 0                                                    // 000000019EE0: BF800000
	v_cndmask_b32_e64 v115, v66, v115, s[40:41]                // 000000019EE4: D1000073 00A2E742
	v_cmp_le_u32_e64 s[40:41], v240, v64                       // 000000019EEC: D0CB0028 000281F0
	v_add_u32_e32 v240, 64, v240                               // 000000019EF4: 69E1E0C0
	s_nop 0                                                    // 000000019EF8: BF800000
	v_cndmask_b32_e64 v116, v66, v116, s[40:41]                // 000000019EFC: D1000074 00A2E942
	v_cmp_le_u32_e64 s[40:41], v241, v64                       // 000000019F04: D0CB0028 000281F1
	v_add_u32_e32 v241, 64, v241                               // 000000019F0C: 69E3E2C0
	s_nop 0                                                    // 000000019F10: BF800000
	v_cndmask_b32_e64 v117, v66, v117, s[40:41]                // 000000019F14: D1000075 00A2EB42
	v_cmp_le_u32_e64 s[40:41], v242, v64                       // 000000019F1C: D0CB0028 000281F2
	v_add_u32_e32 v242, 64, v242                               // 000000019F24: 69E5E4C0
	s_nop 0                                                    // 000000019F28: BF800000
	v_cndmask_b32_e64 v118, v66, v118, s[40:41]                // 000000019F2C: D1000076 00A2ED42
	v_cmp_le_u32_e64 s[40:41], v243, v64                       // 000000019F34: D0CB0028 000281F3
	v_add_u32_e32 v243, 64, v243                               // 000000019F3C: 69E7E6C0
	s_nop 0                                                    // 000000019F40: BF800000
	v_cndmask_b32_e64 v119, v66, v119, s[40:41]                // 000000019F44: D1000077 00A2EF42
	v_cmp_le_u32_e64 s[40:41], v240, v64                       // 000000019F4C: D0CB0028 000281F0
	v_add_u32_e32 v240, 64, v240                               // 000000019F54: 69E1E0C0
	s_nop 0                                                    // 000000019F58: BF800000
	v_cndmask_b32_e64 v120, v66, v120, s[40:41]                // 000000019F5C: D1000078 00A2F142
	v_cmp_le_u32_e64 s[40:41], v241, v64                       // 000000019F64: D0CB0028 000281F1
	v_add_u32_e32 v241, 64, v241                               // 000000019F6C: 69E3E2C0
	s_nop 0                                                    // 000000019F70: BF800000
	v_cndmask_b32_e64 v121, v66, v121, s[40:41]                // 000000019F74: D1000079 00A2F342
	v_cmp_le_u32_e64 s[40:41], v242, v64                       // 000000019F7C: D0CB0028 000281F2
	v_add_u32_e32 v242, 64, v242                               // 000000019F84: 69E5E4C0
	s_nop 0                                                    // 000000019F88: BF800000
	v_cndmask_b32_e64 v122, v66, v122, s[40:41]                // 000000019F8C: D100007A 00A2F542
	v_cmp_le_u32_e64 s[40:41], v243, v64                       // 000000019F94: D0CB0028 000281F3
	v_add_u32_e32 v243, 64, v243                               // 000000019F9C: 69E7E6C0
	s_nop 0                                                    // 000000019FA0: BF800000
	v_cndmask_b32_e64 v123, v66, v123, s[40:41]                // 000000019FA4: D100007B 00A2F742
	v_cmp_le_u32_e64 s[40:41], v240, v64                       // 000000019FAC: D0CB0028 000281F0
	v_add_u32_e32 v240, 64, v240                               // 000000019FB4: 69E1E0C0
	s_nop 0                                                    // 000000019FB8: BF800000
	v_cndmask_b32_e64 v124, v66, v124, s[40:41]                // 000000019FBC: D100007C 00A2F942
	v_cmp_le_u32_e64 s[40:41], v241, v64                       // 000000019FC4: D0CB0028 000281F1
	v_add_u32_e32 v241, 64, v241                               // 000000019FCC: 69E3E2C0
	s_nop 0                                                    // 000000019FD0: BF800000
	v_cndmask_b32_e64 v125, v66, v125, s[40:41]                // 000000019FD4: D100007D 00A2FB42
	v_cmp_le_u32_e64 s[40:41], v242, v64                       // 000000019FDC: D0CB0028 000281F2
	v_add_u32_e32 v242, 64, v242                               // 000000019FE4: 69E5E4C0
	s_nop 0                                                    // 000000019FE8: BF800000
	v_cndmask_b32_e64 v126, v66, v126, s[40:41]                // 000000019FEC: D100007E 00A2FD42
	v_cmp_le_u32_e64 s[40:41], v243, v64                       // 000000019FF4: D0CB0028 000281F3
	v_add_u32_e32 v243, 64, v243                               // 000000019FFC: 69E7E6C0
	s_nop 0                                                    // 00000001A000: BF800000
	v_cndmask_b32_e64 v127, v66, v127, s[40:41]                // 00000001A004: D100007F 00A2FF42

000000000001a00c <label_5F83>:
	s_and_b32 s60, s72, 0xff                                   // 00000001A00C: 863CFF48 000000FF
	v_mov_b32_e32 v65, s60                                     // 00000001A014: 7E82023C
	v_lshrrev_b32_e32 v240, 4, v0                              // 00000001A018: 21E00084
	v_mul_i32_i24_e32 v240, 4, v240                            // 00000001A01C: 0DE1E084
	s_mul_i32 s60, s7, 16                                      // 00000001A020: 923C9007
	v_add_u32_e32 v240, s60, v240                              // 00000001A024: 69E1E03C
	v_add_u32_e32 v241, 1, v240                                // 00000001A028: 69E3E081
	v_add_u32_e32 v242, 2, v240                                // 00000001A02C: 69E5E082
	v_add_u32_e32 v243, 3, v240                                // 00000001A030: 69E7E083
	v_mov_b32_e32 v64, 0xff800000                              // 00000001A034: 7E8002FF FF800000
	v_cmp_lt_u32_e64 s[40:41], v240, v65                       // 00000001A03C: D0C90028 000283F0
	v_add_u32_e32 v240, 64, v240                               // 00000001A044: 69E1E0C0
	s_nop 0                                                    // 00000001A048: BF800000
	v_cndmask_b32_e64 v112, v64, v112, s[40:41]                // 00000001A04C: D1000070 00A2E140
	v_cmp_lt_u32_e64 s[40:41], v241, v65                       // 00000001A054: D0C90028 000283F1
	v_add_u32_e32 v241, 64, v241                               // 00000001A05C: 69E3E2C0
	s_nop 0                                                    // 00000001A060: BF800000
	v_cndmask_b32_e64 v113, v64, v113, s[40:41]                // 00000001A064: D1000071 00A2E340
	v_cmp_lt_u32_e64 s[40:41], v242, v65                       // 00000001A06C: D0C90028 000283F2
	v_add_u32_e32 v242, 64, v242                               // 00000001A074: 69E5E4C0
	s_nop 0                                                    // 00000001A078: BF800000
	v_cndmask_b32_e64 v114, v64, v114, s[40:41]                // 00000001A07C: D1000072 00A2E540
	v_cmp_lt_u32_e64 s[40:41], v243, v65                       // 00000001A084: D0C90028 000283F3
	v_add_u32_e32 v243, 64, v243                               // 00000001A08C: 69E7E6C0
	s_nop 0                                                    // 00000001A090: BF800000
	v_cndmask_b32_e64 v115, v64, v115, s[40:41]                // 00000001A094: D1000073 00A2E740
	v_cmp_lt_u32_e64 s[40:41], v240, v65                       // 00000001A09C: D0C90028 000283F0
	v_add_u32_e32 v240, 64, v240                               // 00000001A0A4: 69E1E0C0
	s_nop 0                                                    // 00000001A0A8: BF800000
	v_cndmask_b32_e64 v116, v64, v116, s[40:41]                // 00000001A0AC: D1000074 00A2E940
	v_cmp_lt_u32_e64 s[40:41], v241, v65                       // 00000001A0B4: D0C90028 000283F1
	v_add_u32_e32 v241, 64, v241                               // 00000001A0BC: 69E3E2C0
	s_nop 0                                                    // 00000001A0C0: BF800000
	v_cndmask_b32_e64 v117, v64, v117, s[40:41]                // 00000001A0C4: D1000075 00A2EB40
	v_cmp_lt_u32_e64 s[40:41], v242, v65                       // 00000001A0CC: D0C90028 000283F2
	v_add_u32_e32 v242, 64, v242                               // 00000001A0D4: 69E5E4C0
	s_nop 0                                                    // 00000001A0D8: BF800000
	v_cndmask_b32_e64 v118, v64, v118, s[40:41]                // 00000001A0DC: D1000076 00A2ED40
	v_cmp_lt_u32_e64 s[40:41], v243, v65                       // 00000001A0E4: D0C90028 000283F3
	v_add_u32_e32 v243, 64, v243                               // 00000001A0EC: 69E7E6C0
	s_nop 0                                                    // 00000001A0F0: BF800000
	v_cndmask_b32_e64 v119, v64, v119, s[40:41]                // 00000001A0F4: D1000077 00A2EF40
	v_cmp_lt_u32_e64 s[40:41], v240, v65                       // 00000001A0FC: D0C90028 000283F0
	v_add_u32_e32 v240, 64, v240                               // 00000001A104: 69E1E0C0
	s_nop 0                                                    // 00000001A108: BF800000
	v_cndmask_b32_e64 v120, v64, v120, s[40:41]                // 00000001A10C: D1000078 00A2F140
	v_cmp_lt_u32_e64 s[40:41], v241, v65                       // 00000001A114: D0C90028 000283F1
	v_add_u32_e32 v241, 64, v241                               // 00000001A11C: 69E3E2C0
	s_nop 0                                                    // 00000001A120: BF800000
	v_cndmask_b32_e64 v121, v64, v121, s[40:41]                // 00000001A124: D1000079 00A2F340
	v_cmp_lt_u32_e64 s[40:41], v242, v65                       // 00000001A12C: D0C90028 000283F2
	v_add_u32_e32 v242, 64, v242                               // 00000001A134: 69E5E4C0
	s_nop 0                                                    // 00000001A138: BF800000
	v_cndmask_b32_e64 v122, v64, v122, s[40:41]                // 00000001A13C: D100007A 00A2F540
	v_cmp_lt_u32_e64 s[40:41], v243, v65                       // 00000001A144: D0C90028 000283F3
	v_add_u32_e32 v243, 64, v243                               // 00000001A14C: 69E7E6C0
	s_nop 0                                                    // 00000001A150: BF800000
	v_cndmask_b32_e64 v123, v64, v123, s[40:41]                // 00000001A154: D100007B 00A2F740
	v_cmp_lt_u32_e64 s[40:41], v240, v65                       // 00000001A15C: D0C90028 000283F0
	v_add_u32_e32 v240, 64, v240                               // 00000001A164: 69E1E0C0
	s_nop 0                                                    // 00000001A168: BF800000
	v_cndmask_b32_e64 v124, v64, v124, s[40:41]                // 00000001A16C: D100007C 00A2F940
	v_cmp_lt_u32_e64 s[40:41], v241, v65                       // 00000001A174: D0C90028 000283F1
	v_add_u32_e32 v241, 64, v241                               // 00000001A17C: 69E3E2C0
	s_nop 0                                                    // 00000001A180: BF800000
	v_cndmask_b32_e64 v125, v64, v125, s[40:41]                // 00000001A184: D100007D 00A2FB40
	v_cmp_lt_u32_e64 s[40:41], v242, v65                       // 00000001A18C: D0C90028 000283F2
	v_add_u32_e32 v242, 64, v242                               // 00000001A194: 69E5E4C0
	s_nop 0                                                    // 00000001A198: BF800000
	v_cndmask_b32_e64 v126, v64, v126, s[40:41]                // 00000001A19C: D100007E 00A2FD40
	v_cmp_lt_u32_e64 s[40:41], v243, v65                       // 00000001A1A4: D0C90028 000283F3
	v_add_u32_e32 v243, 64, v243                               // 00000001A1AC: 69E7E6C0
	s_nop 0                                                    // 00000001A1B0: BF800000
	v_cndmask_b32_e64 v127, v64, v127, s[40:41]                // 00000001A1B4: D100007F 00A2FF40
	v_mov_b32_e32 v48, v112                                    // 00000001A1BC: 7E600370
	v_max3_f32 v48, v112, v113, v48                            // 00000001A1C0: D1D30030 04C2E370
	v_max3_f32 v48, v114, v115, v48                            // 00000001A1C8: D1D30030 04C2E772
	v_max3_f32 v48, v116, v117, v48                            // 00000001A1D0: D1D30030 04C2EB74
	v_max3_f32 v48, v118, v119, v48                            // 00000001A1D8: D1D30030 04C2EF76
	v_max3_f32 v48, v120, v121, v48                            // 00000001A1E0: D1D30030 04C2F378
	v_max3_f32 v48, v122, v123, v48                            // 00000001A1E8: D1D30030 04C2F77A
	v_max3_f32 v48, v124, v125, v48                            // 00000001A1F0: D1D30030 04C2FB7C
	v_max3_f32 v48, v126, v127, v48                            // 00000001A1F8: D1D30030 04C2FF7E
	ds_write_b32 v8, v48 offset:16896                          // 00000001A200: D81A4200 00003008
	v_mul_u32_u24_dpp v64, v17, v54 row_newbcast:1 row_mask:0xf bank_mask:0xf// 00000001A208: 10806CFA FF015111
	v_mul_u32_u24_dpp v65, v17, v54 row_newbcast:5 row_mask:0xf bank_mask:0xf// 00000001A210: 10826CFA FF015511
	v_mul_u32_u24_dpp v66, v17, v54 row_newbcast:9 row_mask:0xf bank_mask:0xf// 00000001A218: 10846CFA FF015911
	v_mul_u32_u24_dpp v67, v17, v54 row_newbcast:13 row_mask:0xf bank_mask:0xf// 00000001A220: 10866CFA FF015D11
	v_add_u32_e32 v34, v64, v6                                 // 00000001A228: 68440D40
	v_add_u32_e32 v35, v65, v6                                 // 00000001A22C: 68460D41
	v_add_u32_e32 v36, v66, v6                                 // 00000001A230: 68480D42
	v_add_u32_e32 v37, v67, v6                                 // 00000001A234: 684A0D43
	v_mul_f32_e32 v208, v49, v208                              // 00000001A238: 0BA1A131
	v_mul_f32_e32 v209, v49, v209                              // 00000001A23C: 0BA3A331
	v_mul_f32_e32 v210, v49, v210                              // 00000001A240: 0BA5A531
	v_mul_f32_e32 v211, v49, v211                              // 00000001A244: 0BA7A731
	v_mul_f32_e32 v212, v49, v212                              // 00000001A248: 0BA9A931
	v_mul_f32_e32 v213, v49, v213                              // 00000001A24C: 0BABAB31
	v_mul_f32_e32 v214, v49, v214                              // 00000001A250: 0BADAD31
	v_mul_f32_e32 v215, v49, v215                              // 00000001A254: 0BAFAF31
	s_waitcnt lgkmcnt(0)                                       // 00000001A258: BF8CC07F
	s_barrier                                                  // 00000001A25C: BF8A0000
	ds_read_b32 v64, v7 offset:16896                           // 00000001A260: D86C4200 40000007
	ds_read_b32 v65, v7 offset:16960                           // 00000001A268: D86C4240 41000007
	ds_read_b32 v66, v7 offset:17024                           // 00000001A270: D86C4280 42000007
	ds_read_b32 v67, v7 offset:17088                           // 00000001A278: D86C42C0 43000007
	ds_read_b32 v68, v7 offset:17152                           // 00000001A280: D86C4300 44000007
	ds_read_b32 v69, v7 offset:17216                           // 00000001A288: D86C4340 45000007
	ds_read_b32 v70, v7 offset:17280                           // 00000001A290: D86C4380 46000007
	ds_read_b32 v71, v7 offset:17344                           // 00000001A298: D86C43C0 47000007
	ds_read_b32 v72, v7 offset:17408                           // 00000001A2A0: D86C4400 48000007
	ds_read_b32 v73, v7 offset:17472                           // 00000001A2A8: D86C4440 49000007
	ds_read_b32 v74, v7 offset:17536                           // 00000001A2B0: D86C4480 4A000007
	ds_read_b32 v75, v7 offset:17600                           // 00000001A2B8: D86C44C0 4B000007
	ds_read_b32 v76, v7 offset:17664                           // 00000001A2C0: D86C4500 4C000007
	ds_read_b32 v77, v7 offset:17728                           // 00000001A2C8: D86C4540 4D000007
	ds_read_b32 v78, v7 offset:17792                           // 00000001A2D0: D86C4580 4E000007
	ds_read_b32 v79, v7 offset:17856                           // 00000001A2D8: D86C45C0 4F000007
	v_cvt_f32_i32_e32 v176, v176                               // 00000001A2E0: 7F600BB0
	v_cvt_f32_i32_e32 v177, v177                               // 00000001A2E4: 7F620BB1
	v_cvt_f32_i32_e32 v178, v178                               // 00000001A2E8: 7F640BB2
	v_cvt_f32_i32_e32 v179, v179                               // 00000001A2EC: 7F660BB3
	v_cvt_f32_i32_e32 v180, v180                               // 00000001A2F0: 7F680BB4
	v_cvt_f32_i32_e32 v181, v181                               // 00000001A2F4: 7F6A0BB5
	v_cvt_f32_i32_e32 v182, v182                               // 00000001A2F8: 7F6C0BB6
	v_cvt_f32_i32_e32 v183, v183                               // 00000001A2FC: 7F6E0BB7
	v_mul_f32_e32 v176, v44, v176                              // 00000001A300: 0B61612C
	v_mul_f32_e32 v177, v44, v177                              // 00000001A304: 0B63632C
	v_mul_f32_e32 v178, v44, v178                              // 00000001A308: 0B65652C
	v_mul_f32_e32 v179, v44, v179                              // 00000001A30C: 0B67672C
	v_mul_f32_e32 v180, v44, v180                              // 00000001A310: 0B69692C
	v_mul_f32_e32 v181, v44, v181                              // 00000001A314: 0B6B6B2C
	v_mul_f32_e32 v182, v44, v182                              // 00000001A318: 0B6D6D2C
	v_mul_f32_e32 v183, v44, v183                              // 00000001A31C: 0B6F6F2C
	s_waitcnt lgkmcnt(0)                                       // 00000001A320: BF8CC07F
	v_max3_f32 v48, v64, v65, v48                              // 00000001A324: D1D30030 04C28340
	v_max3_f32 v48, v66, v67, v48                              // 00000001A32C: D1D30030 04C28742
	v_max3_f32 v48, v68, v69, v48                              // 00000001A334: D1D30030 04C28B44
	v_max3_f32 v48, v70, v71, v48                              // 00000001A33C: D1D30030 04C28F46
	v_max3_f32 v48, v72, v73, v48                              // 00000001A344: D1D30030 04C29348
	v_max3_f32 v48, v74, v75, v48                              // 00000001A34C: D1D30030 04C2974A
	v_max3_f32 v48, v76, v77, v48                              // 00000001A354: D1D30030 04C29B4C
	v_max3_f32 v48, v78, v79, v48                              // 00000001A35C: D1D30030 04C29F4E
	v_mov_b32_e32 v64, 0xff800000                              // 00000001A364: 7E8002FF FF800000
	v_cmp_eq_u32_e64 s[40:41], v64, v11                        // 00000001A36C: D0CA0028 00021740
	s_nop 1                                                    // 00000001A374: BF800001
	v_max_f32_e32 v15, v48, v11                                // 00000001A378: 161E1730
	v_mul_f32_e32 v53, s64, v15                                // 00000001A37C: 0A6A1E40
	v_fma_f32 v112, v112, s64, -v53                            // 00000001A380: D1CB0070 84D48170
	v_fma_f32 v113, v113, s64, -v53                            // 00000001A388: D1CB0071 84D48171
	v_fma_f32 v114, v114, s64, -v53                            // 00000001A390: D1CB0072 84D48172
	v_fma_f32 v115, v115, s64, -v53                            // 00000001A398: D1CB0073 84D48173
	v_fma_f32 v116, v116, s64, -v53                            // 00000001A3A0: D1CB0074 84D48174
	v_fma_f32 v117, v117, s64, -v53                            // 00000001A3A8: D1CB0075 84D48175
	v_fma_f32 v118, v118, s64, -v53                            // 00000001A3B0: D1CB0076 84D48176
	v_fma_f32 v119, v119, s64, -v53                            // 00000001A3B8: D1CB0077 84D48177
	v_fma_f32 v120, v120, s64, -v53                            // 00000001A3C0: D1CB0078 84D48178
	v_fma_f32 v121, v121, s64, -v53                            // 00000001A3C8: D1CB0079 84D48179
	v_fma_f32 v122, v122, s64, -v53                            // 00000001A3D0: D1CB007A 84D4817A
	v_fma_f32 v123, v123, s64, -v53                            // 00000001A3D8: D1CB007B 84D4817B
	v_fma_f32 v124, v124, s64, -v53                            // 00000001A3E0: D1CB007C 84D4817C
	v_fma_f32 v125, v125, s64, -v53                            // 00000001A3E8: D1CB007D 84D4817D
	v_fma_f32 v126, v126, s64, -v53                            // 00000001A3F0: D1CB007E 84D4817E
	v_fma_f32 v127, v127, s64, -v53                            // 00000001A3F8: D1CB007F 84D4817F
	v_exp_f32_e32 v112, v112                                   // 00000001A400: 7EE04170
	v_exp_f32_e32 v113, v113                                   // 00000001A404: 7EE24171
	v_exp_f32_e32 v114, v114                                   // 00000001A408: 7EE44172
	v_exp_f32_e32 v115, v115                                   // 00000001A40C: 7EE64173
	v_exp_f32_e32 v116, v116                                   // 00000001A410: 7EE84174
	v_exp_f32_e32 v117, v117                                   // 00000001A414: 7EEA4175
	v_exp_f32_e32 v118, v118                                   // 00000001A418: 7EEC4176
	v_exp_f32_e32 v119, v119                                   // 00000001A41C: 7EEE4177
	v_exp_f32_e32 v120, v120                                   // 00000001A420: 7EF04178
	v_exp_f32_e32 v121, v121                                   // 00000001A424: 7EF24179
	v_exp_f32_e32 v122, v122                                   // 00000001A428: 7EF4417A
	v_exp_f32_e32 v123, v123                                   // 00000001A42C: 7EF6417B
	v_exp_f32_e32 v124, v124                                   // 00000001A430: 7EF8417C
	v_exp_f32_e32 v125, v125                                   // 00000001A434: 7EFA417D
	v_exp_f32_e32 v126, v126                                   // 00000001A438: 7EFC417E
	v_exp_f32_e32 v127, v127                                   // 00000001A43C: 7EFE417F
	v_mul_f32_dpp v240, v252, v112 quad_perm:[0,0,0,0] row_mask:0xf bank_mask:0xf// 00000001A440: 0BE0E0FA FF0000FC
	v_mul_f32_dpp v241, v252, v113 quad_perm:[1,1,1,1] row_mask:0xf bank_mask:0xf// 00000001A448: 0BE2E2FA FF0055FC
	v_mul_f32_dpp v242, v252, v114 quad_perm:[2,2,2,2] row_mask:0xf bank_mask:0xf// 00000001A450: 0BE4E4FA FF00AAFC
	v_mul_f32_dpp v243, v252, v115 quad_perm:[3,3,3,3] row_mask:0xf bank_mask:0xf// 00000001A458: 0BE6E6FA FF00FFFC
	v_mul_f32_dpp v244, v253, v116 quad_perm:[0,0,0,0] row_mask:0xf bank_mask:0xf// 00000001A460: 0BE8E8FA FF0000FD
	v_mul_f32_dpp v245, v253, v117 quad_perm:[1,1,1,1] row_mask:0xf bank_mask:0xf// 00000001A468: 0BEAEAFA FF0055FD
	v_mul_f32_dpp v246, v253, v118 quad_perm:[2,2,2,2] row_mask:0xf bank_mask:0xf// 00000001A470: 0BECECFA FF00AAFD
	v_mul_f32_dpp v247, v253, v119 quad_perm:[3,3,3,3] row_mask:0xf bank_mask:0xf// 00000001A478: 0BEEEEFA FF00FFFD
	v_mul_f32_dpp v248, v254, v120 quad_perm:[0,0,0,0] row_mask:0xf bank_mask:0xf// 00000001A480: 0BF0F0FA FF0000FE
	v_mul_f32_dpp v249, v254, v121 quad_perm:[1,1,1,1] row_mask:0xf bank_mask:0xf// 00000001A488: 0BF2F2FA FF0055FE
	v_mul_f32_dpp v250, v254, v122 quad_perm:[2,2,2,2] row_mask:0xf bank_mask:0xf// 00000001A490: 0BF4F4FA FF00AAFE
	v_mul_f32_dpp v251, v254, v123 quad_perm:[3,3,3,3] row_mask:0xf bank_mask:0xf// 00000001A498: 0BF6F6FA FF00FFFE
	v_mul_f32_dpp v252, v255, v124 quad_perm:[0,0,0,0] row_mask:0xf bank_mask:0xf// 00000001A4A0: 0BF8F8FA FF0000FF
	v_mul_f32_dpp v253, v255, v125 quad_perm:[1,1,1,1] row_mask:0xf bank_mask:0xf// 00000001A4A8: 0BFAFAFA FF0055FF
	v_mul_f32_dpp v254, v255, v126 quad_perm:[2,2,2,2] row_mask:0xf bank_mask:0xf// 00000001A4B0: 0BFCFCFA FF00AAFF
	v_mul_f32_dpp v255, v255, v127 quad_perm:[3,3,3,3] row_mask:0xf bank_mask:0xf// 00000001A4B8: 0BFEFEFA FF00FFFF
	v_mov_b32_e32 v48, 0x358637bd                              // 00000001A4C0: 7E6002FF 358637BD
	v_max3_f32 v48, |v240|, |v241|, v48                        // 00000001A4C8: D1D30330 04C3E3F0
	v_max3_f32 v48, |v242|, |v243|, v48                        // 00000001A4D0: D1D30330 04C3E7F2
	v_max3_f32 v48, |v244|, |v245|, v48                        // 00000001A4D8: D1D30330 04C3EBF4
	v_max3_f32 v48, |v246|, |v247|, v48                        // 00000001A4E0: D1D30330 04C3EFF6
	v_max3_f32 v48, |v248|, |v249|, v48                        // 00000001A4E8: D1D30330 04C3F3F8
	v_max3_f32 v48, |v250|, |v251|, v48                        // 00000001A4F0: D1D30330 04C3F7FA
	v_max3_f32 v48, |v252|, |v253|, v48                        // 00000001A4F8: D1D30330 04C3FBFC
	v_max3_f32 v48, |v254|, |v255|, v48                        // 00000001A500: D1D30330 04C3FFFE
	ds_write_b32 v8, v48 offset:20992                          // 00000001A508: D81A5200 00003008
	v_sub_f32_e32 v49, v11, v15                                // 00000001A510: 04621F0B
	v_cndmask_b32_e64 v49, v49, 0, s[40:41]                    // 00000001A514: D1000031 00A10131
	v_mov_b32_e32 v11, v15                                     // 00000001A51C: 7E16030F
	v_mul_f32_e32 v49, s64, v49                                // 00000001A520: 0A626240
	v_exp_f32_e32 v49, v49                                     // 00000001A524: 7E624131
	s_waitcnt lgkmcnt(0)                                       // 00000001A528: BF8CC07F
	s_barrier                                                  // 00000001A52C: BF8A0000
	ds_read_b32 v64, v7 offset:20992                           // 00000001A530: D86C5200 40000007
	ds_read_b32 v65, v7 offset:21056                           // 00000001A538: D86C5240 41000007
	ds_read_b32 v66, v7 offset:21120                           // 00000001A540: D86C5280 42000007
	ds_read_b32 v67, v7 offset:21184                           // 00000001A548: D86C52C0 43000007
	ds_read_b32 v68, v7 offset:21248                           // 00000001A550: D86C5300 44000007
	ds_read_b32 v69, v7 offset:21312                           // 00000001A558: D86C5340 45000007
	ds_read_b32 v70, v7 offset:21376                           // 00000001A560: D86C5380 46000007
	ds_read_b32 v71, v7 offset:21440                           // 00000001A568: D86C53C0 47000007
	ds_read_b32 v72, v7 offset:21504                           // 00000001A570: D86C5400 48000007
	ds_read_b32 v73, v7 offset:21568                           // 00000001A578: D86C5440 49000007
	ds_read_b32 v74, v7 offset:21632                           // 00000001A580: D86C5480 4A000007
	ds_read_b32 v75, v7 offset:21696                           // 00000001A588: D86C54C0 4B000007
	ds_read_b32 v76, v7 offset:21760                           // 00000001A590: D86C5500 4C000007
	ds_read_b32 v77, v7 offset:21824                           // 00000001A598: D86C5540 4D000007
	ds_read_b32 v78, v7 offset:21888                           // 00000001A5A0: D86C5580 4E000007
	ds_read_b32 v79, v7 offset:21952                           // 00000001A5A8: D86C55C0 4F000007
	v_mul_f32_e32 v38, v49, v38                                // 00000001A5B0: 0A4C4D31
	v_mov_b32_e32 v15, v112                                    // 00000001A5B4: 7E1E0370
	v_add_f32_e32 v15, v113, v15                               // 00000001A5B8: 021E1F71
	v_add_f32_e32 v15, v114, v15                               // 00000001A5BC: 021E1F72
	v_add_f32_e32 v15, v115, v15                               // 00000001A5C0: 021E1F73
	v_add_f32_e32 v15, v116, v15                               // 00000001A5C4: 021E1F74
	v_add_f32_e32 v15, v117, v15                               // 00000001A5C8: 021E1F75
	v_add_f32_e32 v15, v118, v15                               // 00000001A5CC: 021E1F76
	v_add_f32_e32 v15, v119, v15                               // 00000001A5D0: 021E1F77
	v_add_f32_e32 v15, v120, v15                               // 00000001A5D4: 021E1F78
	v_add_f32_e32 v15, v121, v15                               // 00000001A5D8: 021E1F79
	v_add_f32_e32 v15, v122, v15                               // 00000001A5DC: 021E1F7A
	v_add_f32_e32 v15, v123, v15                               // 00000001A5E0: 021E1F7B
	v_add_f32_e32 v15, v124, v15                               // 00000001A5E4: 021E1F7C
	v_add_f32_e32 v15, v125, v15                               // 00000001A5E8: 021E1F7D
	v_add_f32_e32 v15, v126, v15                               // 00000001A5EC: 021E1F7E
	v_add_f32_e32 v15, v127, v15                               // 00000001A5F0: 021E1F7F
	v_add_f32_e32 v38, v15, v38                                // 00000001A5F4: 024C4D0F
	s_waitcnt lgkmcnt(0)                                       // 00000001A5F8: BF8CC07F
	v_max3_f32 v48, |v64|, |v65|, v48                          // 00000001A5FC: D1D30330 04C28340
	v_max3_f32 v48, |v66|, |v67|, v48                          // 00000001A604: D1D30330 04C28742
	v_max3_f32 v48, |v68|, |v69|, v48                          // 00000001A60C: D1D30330 04C28B44
	v_max3_f32 v48, |v70|, |v71|, v48                          // 00000001A614: D1D30330 04C28F46
	v_max3_f32 v48, |v72|, |v73|, v48                          // 00000001A61C: D1D30330 04C29348
	v_max3_f32 v48, |v74|, |v75|, v48                          // 00000001A624: D1D30330 04C2974A
	v_max3_f32 v48, |v76|, |v77|, v48                          // 00000001A62C: D1D30330 04C29B4C
	v_max3_f32 v48, |v78|, |v79|, v48                          // 00000001A634: D1D30330 04C29F4E
	s_nop 2                                                    // 00000001A63C: BF800002
	v_rcp_f32_e32 v48, v48                                     // 00000001A640: 7E604530
	s_nop 1                                                    // 00000001A644: BF800001
	v_mul_f32_e32 v48, 0x42fe0000, v48                         // 00000001A648: 0A6060FF 42FE0000
	v_mul_f32_e32 v112, v48, v240                              // 00000001A650: 0AE1E130
	v_mul_f32_e32 v113, v48, v241                              // 00000001A654: 0AE3E330
	v_mul_f32_e32 v114, v48, v242                              // 00000001A658: 0AE5E530
	v_mul_f32_e32 v115, v48, v243                              // 00000001A65C: 0AE7E730
	v_mul_f32_e32 v116, v48, v244                              // 00000001A660: 0AE9E930
	v_mul_f32_e32 v117, v48, v245                              // 00000001A664: 0AEBEB30
	v_mul_f32_e32 v118, v48, v246                              // 00000001A668: 0AEDED30
	v_mul_f32_e32 v119, v48, v247                              // 00000001A66C: 0AEFEF30
	v_mul_f32_e32 v120, v48, v248                              // 00000001A670: 0AF1F130
	v_mul_f32_e32 v121, v48, v249                              // 00000001A674: 0AF3F330
	v_mul_f32_e32 v122, v48, v250                              // 00000001A678: 0AF5F530
	v_mul_f32_e32 v123, v48, v251                              // 00000001A67C: 0AF7F730
	v_mul_f32_e32 v124, v48, v252                              // 00000001A680: 0AF9F930
	v_mul_f32_e32 v125, v48, v253                              // 00000001A684: 0AFBFB30
	v_mul_f32_e32 v126, v48, v254                              // 00000001A688: 0AFDFD30
	v_mul_f32_e32 v127, v48, v255                              // 00000001A68C: 0AFFFF30
	v_cvt_i32_f32_e32 v112, v112                               // 00000001A690: 7EE01170
	v_cvt_i32_f32_e32 v113, v113                               // 00000001A694: 7EE21171
	v_cvt_i32_f32_e32 v114, v114                               // 00000001A698: 7EE41172
	v_cvt_i32_f32_e32 v115, v115                               // 00000001A69C: 7EE61173
	v_cvt_i32_f32_e32 v116, v116                               // 00000001A6A0: 7EE81174
	v_cvt_i32_f32_e32 v117, v117                               // 00000001A6A4: 7EEA1175
	v_cvt_i32_f32_e32 v118, v118                               // 00000001A6A8: 7EEC1176
	v_cvt_i32_f32_e32 v119, v119                               // 00000001A6AC: 7EEE1177
	v_cvt_i32_f32_e32 v120, v120                               // 00000001A6B0: 7EF01178
	v_cvt_i32_f32_e32 v121, v121                               // 00000001A6B4: 7EF21179
	v_cvt_i32_f32_e32 v122, v122                               // 00000001A6B8: 7EF4117A
	v_cvt_i32_f32_e32 v123, v123                               // 00000001A6BC: 7EF6117B
	v_cvt_i32_f32_e32 v124, v124                               // 00000001A6C0: 7EF8117C
	v_cvt_i32_f32_e32 v125, v125                               // 00000001A6C4: 7EFA117D
	v_cvt_i32_f32_e32 v126, v126                               // 00000001A6C8: 7EFC117E
	v_cvt_i32_f32_e32 v127, v127                               // 00000001A6CC: 7EFE117F
	v_perm_b32 v112, v113, v112, s53                           // 00000001A6D0: D1ED0070 00D6E171
	v_perm_b32 v112, v114, v112, s54                           // 00000001A6D8: D1ED0070 00DAE172
	v_perm_b32 v112, v115, v112, s55                           // 00000001A6E0: D1ED0070 00DEE173
	v_perm_b32 v113, v117, v116, s53                           // 00000001A6E8: D1ED0071 00D6E975
	v_perm_b32 v113, v118, v113, s54                           // 00000001A6F0: D1ED0071 00DAE376
	v_perm_b32 v113, v119, v113, s55                           // 00000001A6F8: D1ED0071 00DEE377
	v_perm_b32 v114, v121, v120, s53                           // 00000001A700: D1ED0072 00D6F179
	v_perm_b32 v114, v122, v114, s54                           // 00000001A708: D1ED0072 00DAE57A
	v_perm_b32 v114, v123, v114, s55                           // 00000001A710: D1ED0072 00DEE57B
	v_perm_b32 v115, v125, v124, s53                           // 00000001A718: D1ED0073 00D6F97D
	v_perm_b32 v115, v126, v115, s54                           // 00000001A720: D1ED0073 00DAE77E
	v_perm_b32 v115, v127, v115, s55                           // 00000001A728: D1ED0073 00DEE77F
	ds_write_b32 v10, v112 offset:25088                        // 00000001A730: D81A6200 0000700A
	ds_write_b32 v10, v113 offset:26112                        // 00000001A738: D81A6600 0000710A
	ds_write_b32 v10, v114 offset:27136                        // 00000001A740: D81A6A00 0000720A
	ds_write_b32 v10, v115 offset:28160                        // 00000001A748: D81A6E00 0000730A
	v_add_f32_e32 v208, v208, v176                             // 00000001A750: 03A161D0
	v_add_f32_e32 v209, v209, v177                             // 00000001A754: 03A363D1
	v_add_f32_e32 v210, v210, v178                             // 00000001A758: 03A565D2
	v_add_f32_e32 v211, v211, v179                             // 00000001A75C: 03A767D3
	v_add_f32_e32 v212, v212, v180                             // 00000001A760: 03A969D4
	v_add_f32_e32 v213, v213, v181                             // 00000001A764: 03AB6BD5
	v_add_f32_e32 v214, v214, v182                             // 00000001A768: 03AD6DD6
	v_add_f32_e32 v215, v215, v183                             // 00000001A76C: 03AF6FD7
	v_rcp_f32_e32 v44, v48                                     // 00000001A770: 7E584530
	s_waitcnt lgkmcnt(0)                                       // 00000001A774: BF8CC07F
	s_barrier                                                  // 00000001A778: BF8A0000
	ds_read_b64 v[112:113], v9 offset:25088                    // 00000001A77C: D8EC6200 70000009
	ds_read_b64 v[114:115], v9 offset:25216                    // 00000001A784: D8EC6280 72000009
	ds_read_b64 v[116:117], v9 offset:26112                    // 00000001A78C: D8EC6600 74000009
	ds_read_b64 v[118:119], v9 offset:26240                    // 00000001A794: D8EC6680 76000009
	ds_read_b64 v[120:121], v9 offset:27136                    // 00000001A79C: D8EC6A00 78000009
	ds_read_b64 v[122:123], v9 offset:27264                    // 00000001A7A4: D8EC6A80 7A000009
	ds_read_b64 v[124:125], v9 offset:28160                    // 00000001A7AC: D8EC6E00 7C000009
	ds_read_b64 v[126:127], v9 offset:28288                    // 00000001A7B4: D8EC6E80 7E000009
	v_mov_b32_dpp v64, v42 row_shr:4 row_mask:0xf bank_mask:0xf// 00000001A7BC: 7E8002FA FF01142A
	v_mov_b32_dpp v65, v42 row_shl:4 row_mask:0xf bank_mask:0xf// 00000001A7C4: 7E8202FA FF01042A
	v_cndmask_b32_e64 v248, v42, v64, s[44:45]                 // 00000001A7CC: D10000F8 00B2812A
	v_cndmask_b32_e64 v249, v65, v42, s[44:45]                 // 00000001A7D4: D10000F9 00B25541
	v_mov_b32_dpp v64, v248 row_shr:8 row_mask:0xf bank_mask:0xf// 00000001A7DC: 7E8002FA FF0118F8
	v_mov_b32_dpp v65, v248 row_shl:8 row_mask:0xf bank_mask:0xf// 00000001A7E4: 7E8202FA FF0108F8
	v_mov_b32_dpp v66, v249 row_shr:8 row_mask:0xf bank_mask:0xf// 00000001A7EC: 7E8402FA FF0118F9
	v_mov_b32_dpp v67, v249 row_shl:8 row_mask:0xf bank_mask:0xf// 00000001A7F4: 7E8602FA FF0108F9
	v_mov_b32_e32 v68, v248                                    // 00000001A7FC: 7E8803F8
	v_mov_b32_e32 v69, v249                                    // 00000001A800: 7E8A03F9
	v_cndmask_b32_e64 v248, v68, v64, s[42:43]                 // 00000001A804: D10000F8 00AA8144
	v_cndmask_b32_e64 v250, v68, v65, s[78:79]                 // 00000001A80C: D10000FA 013A8344
	v_cndmask_b32_e64 v249, v69, v66, s[42:43]                 // 00000001A814: D10000F9 00AA8545
	v_cndmask_b32_e64 v251, v69, v67, s[78:79]                 // 00000001A81C: D10000FB 013A8745
	v_mov_b32_dpp v64, v57 row_shr:4 row_mask:0xf bank_mask:0xf// 00000001A824: 7E8002FA FF011439
	v_mov_b32_dpp v65, v57 row_shl:4 row_mask:0xf bank_mask:0xf// 00000001A82C: 7E8202FA FF010439
	v_cndmask_b32_e64 v252, v57, v64, s[44:45]                 // 00000001A834: D10000FC 00B28139
	v_cndmask_b32_e64 v253, v65, v57, s[44:45]                 // 00000001A83C: D10000FD 00B27341
	v_mov_b32_dpp v64, v252 row_shr:8 row_mask:0xf bank_mask:0xf// 00000001A844: 7E8002FA FF0118FC
	v_mov_b32_dpp v65, v252 row_shl:8 row_mask:0xf bank_mask:0xf// 00000001A84C: 7E8202FA FF0108FC
	v_mov_b32_dpp v66, v253 row_shr:8 row_mask:0xf bank_mask:0xf// 00000001A854: 7E8402FA FF0118FD
	v_mov_b32_dpp v67, v253 row_shl:8 row_mask:0xf bank_mask:0xf// 00000001A85C: 7E8602FA FF0108FD
	v_mov_b32_e32 v68, v252                                    // 00000001A864: 7E8803FC
	v_mov_b32_e32 v69, v253                                    // 00000001A868: 7E8A03FD
	v_cndmask_b32_e64 v252, v68, v64, s[42:43]                 // 00000001A86C: D10000FC 00AA8144
	v_cndmask_b32_e64 v254, v68, v65, s[78:79]                 // 00000001A874: D10000FE 013A8344
	v_cndmask_b32_e64 v253, v69, v66, s[42:43]                 // 00000001A87C: D10000FD 00AA8545
	v_cndmask_b32_e64 v255, v69, v67, s[78:79]                 // 00000001A884: D10000FF 013A8745
	v_cvt_f32_i32_e32 v128, v128                               // 00000001A88C: 7F000B80
	v_cvt_f32_i32_e32 v129, v129                               // 00000001A890: 7F020B81
	v_cvt_f32_i32_e32 v130, v130                               // 00000001A894: 7F040B82
	v_cvt_f32_i32_e32 v131, v131                               // 00000001A898: 7F060B83
	v_cvt_f32_i32_e32 v132, v132                               // 00000001A89C: 7F080B84
	v_cvt_f32_i32_e32 v133, v133                               // 00000001A8A0: 7F0A0B85
	v_cvt_f32_i32_e32 v134, v134                               // 00000001A8A4: 7F0C0B86
	v_cvt_f32_i32_e32 v135, v135                               // 00000001A8A8: 7F0E0B87
	v_cvt_f32_i32_e32 v136, v136                               // 00000001A8AC: 7F100B88
	v_cvt_f32_i32_e32 v137, v137                               // 00000001A8B0: 7F120B89
	v_cvt_f32_i32_e32 v138, v138                               // 00000001A8B4: 7F140B8A
	v_cvt_f32_i32_e32 v139, v139                               // 00000001A8B8: 7F160B8B
	v_cvt_f32_i32_e32 v140, v140                               // 00000001A8BC: 7F180B8C
	v_cvt_f32_i32_e32 v141, v141                               // 00000001A8C0: 7F1A0B8D
	v_cvt_f32_i32_e32 v142, v142                               // 00000001A8C4: 7F1C0B8E
	v_cvt_f32_i32_e32 v143, v143                               // 00000001A8C8: 7F1E0B8F
	v_mul_f32_e32 v128, v19, v128                              // 00000001A8CC: 0B010113
	v_mul_f32_e32 v129, v19, v129                              // 00000001A8D0: 0B030313
	v_mul_f32_e32 v130, v19, v130                              // 00000001A8D4: 0B050513
	v_mul_f32_e32 v131, v19, v131                              // 00000001A8D8: 0B070713
	v_mul_f32_e32 v132, v19, v132                              // 00000001A8DC: 0B090913
	v_mul_f32_e32 v133, v19, v133                              // 00000001A8E0: 0B0B0B13
	v_mul_f32_e32 v134, v19, v134                              // 00000001A8E4: 0B0D0D13
	v_mul_f32_e32 v135, v19, v135                              // 00000001A8E8: 0B0F0F13
	v_mul_f32_e32 v136, v19, v136                              // 00000001A8EC: 0B111113
	v_mul_f32_e32 v137, v19, v137                              // 00000001A8F0: 0B131313
	v_mul_f32_e32 v138, v19, v138                              // 00000001A8F4: 0B151513
	v_mul_f32_e32 v139, v19, v139                              // 00000001A8F8: 0B171713
	v_mul_f32_e32 v140, v19, v140                              // 00000001A8FC: 0B191913
	v_mul_f32_e32 v141, v19, v141                              // 00000001A900: 0B1B1B13
	v_mul_f32_e32 v142, v19, v142                              // 00000001A904: 0B1D1D13
	v_mul_f32_e32 v143, v19, v143                              // 00000001A908: 0B1F1F13
	v_mul_f32_dpp v128, v248, v128 quad_perm:[0,0,0,0] row_mask:0xf bank_mask:0xf// 00000001A90C: 0B0100FA FF0000F8
	v_mul_f32_dpp v129, v248, v129 quad_perm:[1,1,1,1] row_mask:0xf bank_mask:0xf// 00000001A914: 0B0302FA FF0055F8
	v_mul_f32_dpp v130, v248, v130 quad_perm:[2,2,2,2] row_mask:0xf bank_mask:0xf// 00000001A91C: 0B0504FA FF00AAF8
	v_mul_f32_dpp v131, v248, v131 quad_perm:[3,3,3,3] row_mask:0xf bank_mask:0xf// 00000001A924: 0B0706FA FF00FFF8
	v_mul_f32_dpp v132, v249, v132 quad_perm:[0,0,0,0] row_mask:0xf bank_mask:0xf// 00000001A92C: 0B0908FA FF0000F9
	v_mul_f32_dpp v133, v249, v133 quad_perm:[1,1,1,1] row_mask:0xf bank_mask:0xf// 00000001A934: 0B0B0AFA FF0055F9
	v_mul_f32_dpp v134, v249, v134 quad_perm:[2,2,2,2] row_mask:0xf bank_mask:0xf// 00000001A93C: 0B0D0CFA FF00AAF9
	v_mul_f32_dpp v135, v249, v135 quad_perm:[3,3,3,3] row_mask:0xf bank_mask:0xf// 00000001A944: 0B0F0EFA FF00FFF9
	v_mul_f32_dpp v136, v250, v136 quad_perm:[0,0,0,0] row_mask:0xf bank_mask:0xf// 00000001A94C: 0B1110FA FF0000FA
	v_mul_f32_dpp v137, v250, v137 quad_perm:[1,1,1,1] row_mask:0xf bank_mask:0xf// 00000001A954: 0B1312FA FF0055FA
	v_mul_f32_dpp v138, v250, v138 quad_perm:[2,2,2,2] row_mask:0xf bank_mask:0xf// 00000001A95C: 0B1514FA FF00AAFA
	v_mul_f32_dpp v139, v250, v139 quad_perm:[3,3,3,3] row_mask:0xf bank_mask:0xf// 00000001A964: 0B1716FA FF00FFFA
	v_mul_f32_dpp v140, v251, v140 quad_perm:[0,0,0,0] row_mask:0xf bank_mask:0xf// 00000001A96C: 0B1918FA FF0000FB
	v_mul_f32_dpp v141, v251, v141 quad_perm:[1,1,1,1] row_mask:0xf bank_mask:0xf// 00000001A974: 0B1B1AFA FF0055FB
	v_mul_f32_dpp v142, v251, v142 quad_perm:[2,2,2,2] row_mask:0xf bank_mask:0xf// 00000001A97C: 0B1D1CFA FF00AAFB
	v_mul_f32_dpp v143, v251, v143 quad_perm:[3,3,3,3] row_mask:0xf bank_mask:0xf// 00000001A984: 0B1F1EFA FF00FFFB
	s_cmp_le_i32 s90, s89                                      // 00000001A98C: BF05595A
	s_cbranch_scc1 label_6256                                  // 00000001A990: BF850071
	v_mov_b32_e32 v66, 0xff800000                              // 00000001A994: 7E8402FF FF800000
	s_mov_b32 s60, s90                                         // 00000001A99C: BEBC005A
	s_add_u32 s61, s89, 0xff                                   // 00000001A9A0: 803DFF59 000000FF
	v_mov_b32_e32 v64, s61                                     // 00000001A9A8: 7E80023D
	v_lshrrev_b32_e32 v240, 4, v0                              // 00000001A9AC: 21E00084
	v_mul_i32_i24_e32 v240, 4, v240                            // 00000001A9B0: 0DE1E084
	v_add_u32_e32 v240, s60, v240                              // 00000001A9B4: 69E1E03C
	s_mov_b32 s61, 1                                           // 00000001A9B8: BEBD0081
	s_mul_i32 s60, 16, s7                                      // 00000001A9BC: 923C0790
	v_sub_u32_e64 v240, v240, s61                              // 00000001A9C0: D13500F0 00007BF0
	v_add_u32_e32 v240, s60, v240                              // 00000001A9C8: 69E1E03C
	v_add_u32_e32 v241, 1, v240                                // 00000001A9CC: 69E3E081
	v_add_u32_e32 v242, 2, v240                                // 00000001A9D0: 69E5E082
	v_add_u32_e32 v243, 3, v240                                // 00000001A9D4: 69E7E083
	v_cmp_le_u32_e64 s[40:41], v240, v64                       // 00000001A9D8: D0CB0028 000281F0
	v_add_u32_e32 v240, 64, v240                               // 00000001A9E0: 69E1E0C0
	s_nop 0                                                    // 00000001A9E4: BF800000
	v_cndmask_b32_e64 v128, v66, v128, s[40:41]                // 00000001A9E8: D1000080 00A30142
	v_cmp_le_u32_e64 s[40:41], v241, v64                       // 00000001A9F0: D0CB0028 000281F1
	v_add_u32_e32 v241, 64, v241                               // 00000001A9F8: 69E3E2C0
	s_nop 0                                                    // 00000001A9FC: BF800000
	v_cndmask_b32_e64 v129, v66, v129, s[40:41]                // 00000001AA00: D1000081 00A30342
	v_cmp_le_u32_e64 s[40:41], v242, v64                       // 00000001AA08: D0CB0028 000281F2
	v_add_u32_e32 v242, 64, v242                               // 00000001AA10: 69E5E4C0
	s_nop 0                                                    // 00000001AA14: BF800000
	v_cndmask_b32_e64 v130, v66, v130, s[40:41]                // 00000001AA18: D1000082 00A30542
	v_cmp_le_u32_e64 s[40:41], v243, v64                       // 00000001AA20: D0CB0028 000281F3
	v_add_u32_e32 v243, 64, v243                               // 00000001AA28: 69E7E6C0
	s_nop 0                                                    // 00000001AA2C: BF800000
	v_cndmask_b32_e64 v131, v66, v131, s[40:41]                // 00000001AA30: D1000083 00A30742
	v_cmp_le_u32_e64 s[40:41], v240, v64                       // 00000001AA38: D0CB0028 000281F0
	v_add_u32_e32 v240, 64, v240                               // 00000001AA40: 69E1E0C0
	s_nop 0                                                    // 00000001AA44: BF800000
	v_cndmask_b32_e64 v132, v66, v132, s[40:41]                // 00000001AA48: D1000084 00A30942
	v_cmp_le_u32_e64 s[40:41], v241, v64                       // 00000001AA50: D0CB0028 000281F1
	v_add_u32_e32 v241, 64, v241                               // 00000001AA58: 69E3E2C0
	s_nop 0                                                    // 00000001AA5C: BF800000
	v_cndmask_b32_e64 v133, v66, v133, s[40:41]                // 00000001AA60: D1000085 00A30B42
	v_cmp_le_u32_e64 s[40:41], v242, v64                       // 00000001AA68: D0CB0028 000281F2
	v_add_u32_e32 v242, 64, v242                               // 00000001AA70: 69E5E4C0
	s_nop 0                                                    // 00000001AA74: BF800000
	v_cndmask_b32_e64 v134, v66, v134, s[40:41]                // 00000001AA78: D1000086 00A30D42
	v_cmp_le_u32_e64 s[40:41], v243, v64                       // 00000001AA80: D0CB0028 000281F3
	v_add_u32_e32 v243, 64, v243                               // 00000001AA88: 69E7E6C0
	s_nop 0                                                    // 00000001AA8C: BF800000
	v_cndmask_b32_e64 v135, v66, v135, s[40:41]                // 00000001AA90: D1000087 00A30F42
	v_cmp_le_u32_e64 s[40:41], v240, v64                       // 00000001AA98: D0CB0028 000281F0
	v_add_u32_e32 v240, 64, v240                               // 00000001AAA0: 69E1E0C0
	s_nop 0                                                    // 00000001AAA4: BF800000
	v_cndmask_b32_e64 v136, v66, v136, s[40:41]                // 00000001AAA8: D1000088 00A31142
	v_cmp_le_u32_e64 s[40:41], v241, v64                       // 00000001AAB0: D0CB0028 000281F1
	v_add_u32_e32 v241, 64, v241                               // 00000001AAB8: 69E3E2C0
	s_nop 0                                                    // 00000001AABC: BF800000
	v_cndmask_b32_e64 v137, v66, v137, s[40:41]                // 00000001AAC0: D1000089 00A31342
	v_cmp_le_u32_e64 s[40:41], v242, v64                       // 00000001AAC8: D0CB0028 000281F2
	v_add_u32_e32 v242, 64, v242                               // 00000001AAD0: 69E5E4C0
	s_nop 0                                                    // 00000001AAD4: BF800000
	v_cndmask_b32_e64 v138, v66, v138, s[40:41]                // 00000001AAD8: D100008A 00A31542
	v_cmp_le_u32_e64 s[40:41], v243, v64                       // 00000001AAE0: D0CB0028 000281F3
	v_add_u32_e32 v243, 64, v243                               // 00000001AAE8: 69E7E6C0
	s_nop 0                                                    // 00000001AAEC: BF800000
	v_cndmask_b32_e64 v139, v66, v139, s[40:41]                // 00000001AAF0: D100008B 00A31742
	v_cmp_le_u32_e64 s[40:41], v240, v64                       // 00000001AAF8: D0CB0028 000281F0
	v_add_u32_e32 v240, 64, v240                               // 00000001AB00: 69E1E0C0
	s_nop 0                                                    // 00000001AB04: BF800000
	v_cndmask_b32_e64 v140, v66, v140, s[40:41]                // 00000001AB08: D100008C 00A31942
	v_cmp_le_u32_e64 s[40:41], v241, v64                       // 00000001AB10: D0CB0028 000281F1
	v_add_u32_e32 v241, 64, v241                               // 00000001AB18: 69E3E2C0
	s_nop 0                                                    // 00000001AB1C: BF800000
	v_cndmask_b32_e64 v141, v66, v141, s[40:41]                // 00000001AB20: D100008D 00A31B42
	v_cmp_le_u32_e64 s[40:41], v242, v64                       // 00000001AB28: D0CB0028 000281F2
	v_add_u32_e32 v242, 64, v242                               // 00000001AB30: 69E5E4C0
	s_nop 0                                                    // 00000001AB34: BF800000
	v_cndmask_b32_e64 v142, v66, v142, s[40:41]                // 00000001AB38: D100008E 00A31D42
	v_cmp_le_u32_e64 s[40:41], v243, v64                       // 00000001AB40: D0CB0028 000281F3
	v_add_u32_e32 v243, 64, v243                               // 00000001AB48: 69E7E6C0
	s_nop 0                                                    // 00000001AB4C: BF800000
	v_cndmask_b32_e64 v143, v66, v143, s[40:41]                // 00000001AB50: D100008F 00A31F42

000000000001ab58 <label_6256>:
	s_and_b32 s60, s72, 0xff                                   // 00000001AB58: 863CFF48 000000FF
	v_mov_b32_e32 v65, s60                                     // 00000001AB60: 7E82023C
	v_lshrrev_b32_e32 v240, 4, v0                              // 00000001AB64: 21E00084
	v_mul_i32_i24_e32 v240, 4, v240                            // 00000001AB68: 0DE1E084
	s_mul_i32 s60, s7, 16                                      // 00000001AB6C: 923C9007
	v_add_u32_e32 v240, s60, v240                              // 00000001AB70: 69E1E03C
	v_add_u32_e32 v241, 1, v240                                // 00000001AB74: 69E3E081
	v_add_u32_e32 v242, 2, v240                                // 00000001AB78: 69E5E082
	v_add_u32_e32 v243, 3, v240                                // 00000001AB7C: 69E7E083
	v_mov_b32_e32 v64, 0xff800000                              // 00000001AB80: 7E8002FF FF800000
	v_cmp_lt_u32_e64 s[40:41], v240, v65                       // 00000001AB88: D0C90028 000283F0
	v_add_u32_e32 v240, 64, v240                               // 00000001AB90: 69E1E0C0
	s_nop 0                                                    // 00000001AB94: BF800000
	v_cndmask_b32_e64 v128, v64, v128, s[40:41]                // 00000001AB98: D1000080 00A30140
	v_cmp_lt_u32_e64 s[40:41], v241, v65                       // 00000001ABA0: D0C90028 000283F1
	v_add_u32_e32 v241, 64, v241                               // 00000001ABA8: 69E3E2C0
	s_nop 0                                                    // 00000001ABAC: BF800000
	v_cndmask_b32_e64 v129, v64, v129, s[40:41]                // 00000001ABB0: D1000081 00A30340
	v_cmp_lt_u32_e64 s[40:41], v242, v65                       // 00000001ABB8: D0C90028 000283F2
	v_add_u32_e32 v242, 64, v242                               // 00000001ABC0: 69E5E4C0
	s_nop 0                                                    // 00000001ABC4: BF800000
	v_cndmask_b32_e64 v130, v64, v130, s[40:41]                // 00000001ABC8: D1000082 00A30540
	v_cmp_lt_u32_e64 s[40:41], v243, v65                       // 00000001ABD0: D0C90028 000283F3
	v_add_u32_e32 v243, 64, v243                               // 00000001ABD8: 69E7E6C0
	s_nop 0                                                    // 00000001ABDC: BF800000
	v_cndmask_b32_e64 v131, v64, v131, s[40:41]                // 00000001ABE0: D1000083 00A30740
	v_cmp_lt_u32_e64 s[40:41], v240, v65                       // 00000001ABE8: D0C90028 000283F0
	v_add_u32_e32 v240, 64, v240                               // 00000001ABF0: 69E1E0C0
	s_nop 0                                                    // 00000001ABF4: BF800000
	v_cndmask_b32_e64 v132, v64, v132, s[40:41]                // 00000001ABF8: D1000084 00A30940
	v_cmp_lt_u32_e64 s[40:41], v241, v65                       // 00000001AC00: D0C90028 000283F1
	v_add_u32_e32 v241, 64, v241                               // 00000001AC08: 69E3E2C0
	s_nop 0                                                    // 00000001AC0C: BF800000
	v_cndmask_b32_e64 v133, v64, v133, s[40:41]                // 00000001AC10: D1000085 00A30B40
	v_cmp_lt_u32_e64 s[40:41], v242, v65                       // 00000001AC18: D0C90028 000283F2
	v_add_u32_e32 v242, 64, v242                               // 00000001AC20: 69E5E4C0
	s_nop 0                                                    // 00000001AC24: BF800000
	v_cndmask_b32_e64 v134, v64, v134, s[40:41]                // 00000001AC28: D1000086 00A30D40
	v_cmp_lt_u32_e64 s[40:41], v243, v65                       // 00000001AC30: D0C90028 000283F3
	v_add_u32_e32 v243, 64, v243                               // 00000001AC38: 69E7E6C0
	s_nop 0                                                    // 00000001AC3C: BF800000
	v_cndmask_b32_e64 v135, v64, v135, s[40:41]                // 00000001AC40: D1000087 00A30F40
	v_cmp_lt_u32_e64 s[40:41], v240, v65                       // 00000001AC48: D0C90028 000283F0
	v_add_u32_e32 v240, 64, v240                               // 00000001AC50: 69E1E0C0
	s_nop 0                                                    // 00000001AC54: BF800000
	v_cndmask_b32_e64 v136, v64, v136, s[40:41]                // 00000001AC58: D1000088 00A31140
	v_cmp_lt_u32_e64 s[40:41], v241, v65                       // 00000001AC60: D0C90028 000283F1
	v_add_u32_e32 v241, 64, v241                               // 00000001AC68: 69E3E2C0
	s_nop 0                                                    // 00000001AC6C: BF800000
	v_cndmask_b32_e64 v137, v64, v137, s[40:41]                // 00000001AC70: D1000089 00A31340
	v_cmp_lt_u32_e64 s[40:41], v242, v65                       // 00000001AC78: D0C90028 000283F2
	v_add_u32_e32 v242, 64, v242                               // 00000001AC80: 69E5E4C0
	s_nop 0                                                    // 00000001AC84: BF800000
	v_cndmask_b32_e64 v138, v64, v138, s[40:41]                // 00000001AC88: D100008A 00A31540
	v_cmp_lt_u32_e64 s[40:41], v243, v65                       // 00000001AC90: D0C90028 000283F3
	v_add_u32_e32 v243, 64, v243                               // 00000001AC98: 69E7E6C0
	s_nop 0                                                    // 00000001AC9C: BF800000
	v_cndmask_b32_e64 v139, v64, v139, s[40:41]                // 00000001ACA0: D100008B 00A31740
	v_cmp_lt_u32_e64 s[40:41], v240, v65                       // 00000001ACA8: D0C90028 000283F0
	v_add_u32_e32 v240, 64, v240                               // 00000001ACB0: 69E1E0C0
	s_nop 0                                                    // 00000001ACB4: BF800000
	v_cndmask_b32_e64 v140, v64, v140, s[40:41]                // 00000001ACB8: D100008C 00A31940
	v_cmp_lt_u32_e64 s[40:41], v241, v65                       // 00000001ACC0: D0C90028 000283F1
	v_add_u32_e32 v241, 64, v241                               // 00000001ACC8: 69E3E2C0
	s_nop 0                                                    // 00000001ACCC: BF800000
	v_cndmask_b32_e64 v141, v64, v141, s[40:41]                // 00000001ACD0: D100008D 00A31B40
	v_cmp_lt_u32_e64 s[40:41], v242, v65                       // 00000001ACD8: D0C90028 000283F2
	v_add_u32_e32 v242, 64, v242                               // 00000001ACE0: 69E5E4C0
	s_nop 0                                                    // 00000001ACE4: BF800000
	v_cndmask_b32_e64 v142, v64, v142, s[40:41]                // 00000001ACE8: D100008E 00A31D40
	v_cmp_lt_u32_e64 s[40:41], v243, v65                       // 00000001ACF0: D0C90028 000283F3
	v_add_u32_e32 v243, 64, v243                               // 00000001ACF8: 69E7E6C0
	s_nop 0                                                    // 00000001ACFC: BF800000
	v_cndmask_b32_e64 v143, v64, v143, s[40:41]                // 00000001AD00: D100008F 00A31F40
	v_mov_b32_e32 v48, v128                                    // 00000001AD08: 7E600380
	v_max3_f32 v48, v128, v129, v48                            // 00000001AD0C: D1D30030 04C30380
	v_max3_f32 v48, v130, v131, v48                            // 00000001AD14: D1D30030 04C30782
	v_max3_f32 v48, v132, v133, v48                            // 00000001AD1C: D1D30030 04C30B84
	v_max3_f32 v48, v134, v135, v48                            // 00000001AD24: D1D30030 04C30F86
	v_max3_f32 v48, v136, v137, v48                            // 00000001AD2C: D1D30030 04C31388
	v_max3_f32 v48, v138, v139, v48                            // 00000001AD34: D1D30030 04C3178A
	v_max3_f32 v48, v140, v141, v48                            // 00000001AD3C: D1D30030 04C31B8C
	v_max3_f32 v48, v142, v143, v48                            // 00000001AD44: D1D30030 04C31F8E
	ds_write_b32 v8, v48 offset:16896                          // 00000001AD4C: D81A4200 00003008
	v_mul_f32_e32 v216, v50, v216                              // 00000001AD54: 0BB1B132
	v_mul_f32_e32 v217, v50, v217                              // 00000001AD58: 0BB3B332
	v_mul_f32_e32 v218, v50, v218                              // 00000001AD5C: 0BB5B532
	v_mul_f32_e32 v219, v50, v219                              // 00000001AD60: 0BB7B732
	v_mul_f32_e32 v220, v50, v220                              // 00000001AD64: 0BB9B932
	v_mul_f32_e32 v221, v50, v221                              // 00000001AD68: 0BBBBB32
	v_mul_f32_e32 v222, v50, v222                              // 00000001AD6C: 0BBDBD32
	v_mul_f32_e32 v223, v50, v223                              // 00000001AD70: 0BBFBF32
	s_waitcnt lgkmcnt(0)                                       // 00000001AD74: BF8CC07F
	s_barrier                                                  // 00000001AD78: BF8A0000
	ds_read_b32 v64, v7 offset:16896                           // 00000001AD7C: D86C4200 40000007
	ds_read_b32 v65, v7 offset:16960                           // 00000001AD84: D86C4240 41000007
	ds_read_b32 v66, v7 offset:17024                           // 00000001AD8C: D86C4280 42000007
	ds_read_b32 v67, v7 offset:17088                           // 00000001AD94: D86C42C0 43000007
	ds_read_b32 v68, v7 offset:17152                           // 00000001AD9C: D86C4300 44000007
	ds_read_b32 v69, v7 offset:17216                           // 00000001ADA4: D86C4340 45000007
	ds_read_b32 v70, v7 offset:17280                           // 00000001ADAC: D86C4380 46000007
	ds_read_b32 v71, v7 offset:17344                           // 00000001ADB4: D86C43C0 47000007
	ds_read_b32 v72, v7 offset:17408                           // 00000001ADBC: D86C4400 48000007
	ds_read_b32 v73, v7 offset:17472                           // 00000001ADC4: D86C4440 49000007
	ds_read_b32 v74, v7 offset:17536                           // 00000001ADCC: D86C4480 4A000007
	ds_read_b32 v75, v7 offset:17600                           // 00000001ADD4: D86C44C0 4B000007
	ds_read_b32 v76, v7 offset:17664                           // 00000001ADDC: D86C4500 4C000007
	ds_read_b32 v77, v7 offset:17728                           // 00000001ADE4: D86C4540 4D000007
	ds_read_b32 v78, v7 offset:17792                           // 00000001ADEC: D86C4580 4E000007
	ds_read_b32 v79, v7 offset:17856                           // 00000001ADF4: D86C45C0 4F000007
	v_cvt_f32_i32_e32 v184, v184                               // 00000001ADFC: 7F700BB8
	v_cvt_f32_i32_e32 v185, v185                               // 00000001AE00: 7F720BB9
	v_cvt_f32_i32_e32 v186, v186                               // 00000001AE04: 7F740BBA
	v_cvt_f32_i32_e32 v187, v187                               // 00000001AE08: 7F760BBB
	v_cvt_f32_i32_e32 v188, v188                               // 00000001AE0C: 7F780BBC
	v_cvt_f32_i32_e32 v189, v189                               // 00000001AE10: 7F7A0BBD
	v_cvt_f32_i32_e32 v190, v190                               // 00000001AE14: 7F7C0BBE
	v_cvt_f32_i32_e32 v191, v191                               // 00000001AE18: 7F7E0BBF
	v_mul_f32_e32 v184, v45, v184                              // 00000001AE1C: 0B71712D
	v_mul_f32_e32 v185, v45, v185                              // 00000001AE20: 0B73732D
	v_mul_f32_e32 v186, v45, v186                              // 00000001AE24: 0B75752D
	v_mul_f32_e32 v187, v45, v187                              // 00000001AE28: 0B77772D
	v_mul_f32_e32 v188, v45, v188                              // 00000001AE2C: 0B79792D
	v_mul_f32_e32 v189, v45, v189                              // 00000001AE30: 0B7B7B2D
	v_mul_f32_e32 v190, v45, v190                              // 00000001AE34: 0B7D7D2D
	v_mul_f32_e32 v191, v45, v191                              // 00000001AE38: 0B7F7F2D
	s_waitcnt lgkmcnt(0)                                       // 00000001AE3C: BF8CC07F
	v_max3_f32 v48, v64, v65, v48                              // 00000001AE40: D1D30030 04C28340
	v_max3_f32 v48, v66, v67, v48                              // 00000001AE48: D1D30030 04C28742
	v_max3_f32 v48, v68, v69, v48                              // 00000001AE50: D1D30030 04C28B44
	v_max3_f32 v48, v70, v71, v48                              // 00000001AE58: D1D30030 04C28F46
	v_max3_f32 v48, v72, v73, v48                              // 00000001AE60: D1D30030 04C29348
	v_max3_f32 v48, v74, v75, v48                              // 00000001AE68: D1D30030 04C2974A
	v_max3_f32 v48, v76, v77, v48                              // 00000001AE70: D1D30030 04C29B4C
	v_max3_f32 v48, v78, v79, v48                              // 00000001AE78: D1D30030 04C29F4E
	v_mov_b32_e32 v64, 0xff800000                              // 00000001AE80: 7E8002FF FF800000
	v_cmp_eq_u32_e64 s[40:41], v64, v12                        // 00000001AE88: D0CA0028 00021940
	s_nop 1                                                    // 00000001AE90: BF800001
	v_max_f32_e32 v15, v48, v12                                // 00000001AE94: 161E1930
	v_mul_f32_e32 v53, s64, v15                                // 00000001AE98: 0A6A1E40
	v_fma_f32 v128, v128, s64, -v53                            // 00000001AE9C: D1CB0080 84D48180
	v_fma_f32 v129, v129, s64, -v53                            // 00000001AEA4: D1CB0081 84D48181
	v_fma_f32 v130, v130, s64, -v53                            // 00000001AEAC: D1CB0082 84D48182
	v_fma_f32 v131, v131, s64, -v53                            // 00000001AEB4: D1CB0083 84D48183
	v_fma_f32 v132, v132, s64, -v53                            // 00000001AEBC: D1CB0084 84D48184
	v_fma_f32 v133, v133, s64, -v53                            // 00000001AEC4: D1CB0085 84D48185
	v_fma_f32 v134, v134, s64, -v53                            // 00000001AECC: D1CB0086 84D48186
	v_fma_f32 v135, v135, s64, -v53                            // 00000001AED4: D1CB0087 84D48187
	v_fma_f32 v136, v136, s64, -v53                            // 00000001AEDC: D1CB0088 84D48188
	v_fma_f32 v137, v137, s64, -v53                            // 00000001AEE4: D1CB0089 84D48189
	v_fma_f32 v138, v138, s64, -v53                            // 00000001AEEC: D1CB008A 84D4818A
	v_fma_f32 v139, v139, s64, -v53                            // 00000001AEF4: D1CB008B 84D4818B
	v_fma_f32 v140, v140, s64, -v53                            // 00000001AEFC: D1CB008C 84D4818C
	v_fma_f32 v141, v141, s64, -v53                            // 00000001AF04: D1CB008D 84D4818D
	v_fma_f32 v142, v142, s64, -v53                            // 00000001AF0C: D1CB008E 84D4818E
	v_fma_f32 v143, v143, s64, -v53                            // 00000001AF14: D1CB008F 84D4818F
	v_exp_f32_e32 v128, v128                                   // 00000001AF1C: 7F004180
	v_exp_f32_e32 v129, v129                                   // 00000001AF20: 7F024181
	v_exp_f32_e32 v130, v130                                   // 00000001AF24: 7F044182
	v_exp_f32_e32 v131, v131                                   // 00000001AF28: 7F064183
	v_exp_f32_e32 v132, v132                                   // 00000001AF2C: 7F084184
	v_exp_f32_e32 v133, v133                                   // 00000001AF30: 7F0A4185
	v_exp_f32_e32 v134, v134                                   // 00000001AF34: 7F0C4186
	v_exp_f32_e32 v135, v135                                   // 00000001AF38: 7F0E4187
	v_exp_f32_e32 v136, v136                                   // 00000001AF3C: 7F104188
	v_exp_f32_e32 v137, v137                                   // 00000001AF40: 7F124189
	v_exp_f32_e32 v138, v138                                   // 00000001AF44: 7F14418A
	v_exp_f32_e32 v139, v139                                   // 00000001AF48: 7F16418B
	v_exp_f32_e32 v140, v140                                   // 00000001AF4C: 7F18418C
	v_exp_f32_e32 v141, v141                                   // 00000001AF50: 7F1A418D
	v_exp_f32_e32 v142, v142                                   // 00000001AF54: 7F1C418E
	v_exp_f32_e32 v143, v143                                   // 00000001AF58: 7F1E418F
	v_mul_f32_dpp v240, v252, v128 quad_perm:[0,0,0,0] row_mask:0xf bank_mask:0xf// 00000001AF5C: 0BE100FA FF0000FC
	v_mul_f32_dpp v241, v252, v129 quad_perm:[1,1,1,1] row_mask:0xf bank_mask:0xf// 00000001AF64: 0BE302FA FF0055FC
	v_mul_f32_dpp v242, v252, v130 quad_perm:[2,2,2,2] row_mask:0xf bank_mask:0xf// 00000001AF6C: 0BE504FA FF00AAFC
	v_mul_f32_dpp v243, v252, v131 quad_perm:[3,3,3,3] row_mask:0xf bank_mask:0xf// 00000001AF74: 0BE706FA FF00FFFC
	v_mul_f32_dpp v244, v253, v132 quad_perm:[0,0,0,0] row_mask:0xf bank_mask:0xf// 00000001AF7C: 0BE908FA FF0000FD
	v_mul_f32_dpp v245, v253, v133 quad_perm:[1,1,1,1] row_mask:0xf bank_mask:0xf// 00000001AF84: 0BEB0AFA FF0055FD
	v_mul_f32_dpp v246, v253, v134 quad_perm:[2,2,2,2] row_mask:0xf bank_mask:0xf// 00000001AF8C: 0BED0CFA FF00AAFD
	v_mul_f32_dpp v247, v253, v135 quad_perm:[3,3,3,3] row_mask:0xf bank_mask:0xf// 00000001AF94: 0BEF0EFA FF00FFFD
	v_mul_f32_dpp v248, v254, v136 quad_perm:[0,0,0,0] row_mask:0xf bank_mask:0xf// 00000001AF9C: 0BF110FA FF0000FE
	v_mul_f32_dpp v249, v254, v137 quad_perm:[1,1,1,1] row_mask:0xf bank_mask:0xf// 00000001AFA4: 0BF312FA FF0055FE
	v_mul_f32_dpp v250, v254, v138 quad_perm:[2,2,2,2] row_mask:0xf bank_mask:0xf// 00000001AFAC: 0BF514FA FF00AAFE
	v_mul_f32_dpp v251, v254, v139 quad_perm:[3,3,3,3] row_mask:0xf bank_mask:0xf// 00000001AFB4: 0BF716FA FF00FFFE
	v_mul_f32_dpp v252, v255, v140 quad_perm:[0,0,0,0] row_mask:0xf bank_mask:0xf// 00000001AFBC: 0BF918FA FF0000FF
	v_mul_f32_dpp v253, v255, v141 quad_perm:[1,1,1,1] row_mask:0xf bank_mask:0xf// 00000001AFC4: 0BFB1AFA FF0055FF
	v_mul_f32_dpp v254, v255, v142 quad_perm:[2,2,2,2] row_mask:0xf bank_mask:0xf// 00000001AFCC: 0BFD1CFA FF00AAFF
	v_mul_f32_dpp v255, v255, v143 quad_perm:[3,3,3,3] row_mask:0xf bank_mask:0xf// 00000001AFD4: 0BFF1EFA FF00FFFF
	v_mov_b32_e32 v48, 0x358637bd                              // 00000001AFDC: 7E6002FF 358637BD
	v_max3_f32 v48, |v240|, |v241|, v48                        // 00000001AFE4: D1D30330 04C3E3F0
	v_max3_f32 v48, |v242|, |v243|, v48                        // 00000001AFEC: D1D30330 04C3E7F2
	v_max3_f32 v48, |v244|, |v245|, v48                        // 00000001AFF4: D1D30330 04C3EBF4
	v_max3_f32 v48, |v246|, |v247|, v48                        // 00000001AFFC: D1D30330 04C3EFF6
	v_max3_f32 v48, |v248|, |v249|, v48                        // 00000001B004: D1D30330 04C3F3F8
	v_max3_f32 v48, |v250|, |v251|, v48                        // 00000001B00C: D1D30330 04C3F7FA
	v_max3_f32 v48, |v252|, |v253|, v48                        // 00000001B014: D1D30330 04C3FBFC
	v_max3_f32 v48, |v254|, |v255|, v48                        // 00000001B01C: D1D30330 04C3FFFE
	ds_write_b32 v8, v48 offset:20992                          // 00000001B024: D81A5200 00003008
	v_sub_f32_e32 v50, v12, v15                                // 00000001B02C: 04641F0C
	v_cndmask_b32_e64 v50, v50, 0, s[40:41]                    // 00000001B030: D1000032 00A10132
	v_mov_b32_e32 v12, v15                                     // 00000001B038: 7E18030F
	v_mul_f32_e32 v50, s64, v50                                // 00000001B03C: 0A646440
	v_exp_f32_e32 v50, v50                                     // 00000001B040: 7E644132
	s_waitcnt lgkmcnt(0)                                       // 00000001B044: BF8CC07F
	s_barrier                                                  // 00000001B048: BF8A0000
	ds_read_b32 v64, v7 offset:20992                           // 00000001B04C: D86C5200 40000007
	ds_read_b32 v65, v7 offset:21056                           // 00000001B054: D86C5240 41000007
	ds_read_b32 v66, v7 offset:21120                           // 00000001B05C: D86C5280 42000007
	ds_read_b32 v67, v7 offset:21184                           // 00000001B064: D86C52C0 43000007
	ds_read_b32 v68, v7 offset:21248                           // 00000001B06C: D86C5300 44000007
	ds_read_b32 v69, v7 offset:21312                           // 00000001B074: D86C5340 45000007
	ds_read_b32 v70, v7 offset:21376                           // 00000001B07C: D86C5380 46000007
	ds_read_b32 v71, v7 offset:21440                           // 00000001B084: D86C53C0 47000007
	ds_read_b32 v72, v7 offset:21504                           // 00000001B08C: D86C5400 48000007
	ds_read_b32 v73, v7 offset:21568                           // 00000001B094: D86C5440 49000007
	ds_read_b32 v74, v7 offset:21632                           // 00000001B09C: D86C5480 4A000007
	ds_read_b32 v75, v7 offset:21696                           // 00000001B0A4: D86C54C0 4B000007
	ds_read_b32 v76, v7 offset:21760                           // 00000001B0AC: D86C5500 4C000007
	ds_read_b32 v77, v7 offset:21824                           // 00000001B0B4: D86C5540 4D000007
	ds_read_b32 v78, v7 offset:21888                           // 00000001B0BC: D86C5580 4E000007
	ds_read_b32 v79, v7 offset:21952                           // 00000001B0C4: D86C55C0 4F000007
	v_mul_f32_e32 v39, v50, v39                                // 00000001B0CC: 0A4E4F32
	v_mov_b32_e32 v15, v128                                    // 00000001B0D0: 7E1E0380
	v_add_f32_e32 v15, v129, v15                               // 00000001B0D4: 021E1F81
	v_add_f32_e32 v15, v130, v15                               // 00000001B0D8: 021E1F82
	v_add_f32_e32 v15, v131, v15                               // 00000001B0DC: 021E1F83
	v_add_f32_e32 v15, v132, v15                               // 00000001B0E0: 021E1F84
	v_add_f32_e32 v15, v133, v15                               // 00000001B0E4: 021E1F85
	v_add_f32_e32 v15, v134, v15                               // 00000001B0E8: 021E1F86
	v_add_f32_e32 v15, v135, v15                               // 00000001B0EC: 021E1F87
	v_add_f32_e32 v15, v136, v15                               // 00000001B0F0: 021E1F88
	v_add_f32_e32 v15, v137, v15                               // 00000001B0F4: 021E1F89
	v_add_f32_e32 v15, v138, v15                               // 00000001B0F8: 021E1F8A
	v_add_f32_e32 v15, v139, v15                               // 00000001B0FC: 021E1F8B
	v_add_f32_e32 v15, v140, v15                               // 00000001B100: 021E1F8C
	v_add_f32_e32 v15, v141, v15                               // 00000001B104: 021E1F8D
	v_add_f32_e32 v15, v142, v15                               // 00000001B108: 021E1F8E
	v_add_f32_e32 v15, v143, v15                               // 00000001B10C: 021E1F8F
	v_add_f32_e32 v39, v15, v39                                // 00000001B110: 024E4F0F
	s_waitcnt lgkmcnt(0)                                       // 00000001B114: BF8CC07F
	v_max3_f32 v48, |v64|, |v65|, v48                          // 00000001B118: D1D30330 04C28340
	v_max3_f32 v48, |v66|, |v67|, v48                          // 00000001B120: D1D30330 04C28742
	v_max3_f32 v48, |v68|, |v69|, v48                          // 00000001B128: D1D30330 04C28B44
	v_max3_f32 v48, |v70|, |v71|, v48                          // 00000001B130: D1D30330 04C28F46
	v_max3_f32 v48, |v72|, |v73|, v48                          // 00000001B138: D1D30330 04C29348
	v_max3_f32 v48, |v74|, |v75|, v48                          // 00000001B140: D1D30330 04C2974A
	v_max3_f32 v48, |v76|, |v77|, v48                          // 00000001B148: D1D30330 04C29B4C
	v_max3_f32 v48, |v78|, |v79|, v48                          // 00000001B150: D1D30330 04C29F4E
	s_nop 2                                                    // 00000001B158: BF800002
	v_rcp_f32_e32 v48, v48                                     // 00000001B15C: 7E604530
	s_nop 1                                                    // 00000001B160: BF800001
	v_mul_f32_e32 v48, 0x42fe0000, v48                         // 00000001B164: 0A6060FF 42FE0000
	v_mul_f32_e32 v128, v48, v240                              // 00000001B16C: 0B01E130
	v_mul_f32_e32 v129, v48, v241                              // 00000001B170: 0B03E330
	v_mul_f32_e32 v130, v48, v242                              // 00000001B174: 0B05E530
	v_mul_f32_e32 v131, v48, v243                              // 00000001B178: 0B07E730
	v_mul_f32_e32 v132, v48, v244                              // 00000001B17C: 0B09E930
	v_mul_f32_e32 v133, v48, v245                              // 00000001B180: 0B0BEB30
	v_mul_f32_e32 v134, v48, v246                              // 00000001B184: 0B0DED30
	v_mul_f32_e32 v135, v48, v247                              // 00000001B188: 0B0FEF30
	v_mul_f32_e32 v136, v48, v248                              // 00000001B18C: 0B11F130
	v_mul_f32_e32 v137, v48, v249                              // 00000001B190: 0B13F330
	v_mul_f32_e32 v138, v48, v250                              // 00000001B194: 0B15F530
	v_mul_f32_e32 v139, v48, v251                              // 00000001B198: 0B17F730
	v_mul_f32_e32 v140, v48, v252                              // 00000001B19C: 0B19F930
	v_mul_f32_e32 v141, v48, v253                              // 00000001B1A0: 0B1BFB30
	v_mul_f32_e32 v142, v48, v254                              // 00000001B1A4: 0B1DFD30
	v_mul_f32_e32 v143, v48, v255                              // 00000001B1A8: 0B1FFF30
	v_cvt_i32_f32_e32 v128, v128                               // 00000001B1AC: 7F001180
	v_cvt_i32_f32_e32 v129, v129                               // 00000001B1B0: 7F021181
	v_cvt_i32_f32_e32 v130, v130                               // 00000001B1B4: 7F041182
	v_cvt_i32_f32_e32 v131, v131                               // 00000001B1B8: 7F061183
	v_cvt_i32_f32_e32 v132, v132                               // 00000001B1BC: 7F081184
	v_cvt_i32_f32_e32 v133, v133                               // 00000001B1C0: 7F0A1185
	v_cvt_i32_f32_e32 v134, v134                               // 00000001B1C4: 7F0C1186
	v_cvt_i32_f32_e32 v135, v135                               // 00000001B1C8: 7F0E1187
	v_cvt_i32_f32_e32 v136, v136                               // 00000001B1CC: 7F101188
	v_cvt_i32_f32_e32 v137, v137                               // 00000001B1D0: 7F121189
	v_cvt_i32_f32_e32 v138, v138                               // 00000001B1D4: 7F14118A
	v_cvt_i32_f32_e32 v139, v139                               // 00000001B1D8: 7F16118B
	v_cvt_i32_f32_e32 v140, v140                               // 00000001B1DC: 7F18118C
	v_cvt_i32_f32_e32 v141, v141                               // 00000001B1E0: 7F1A118D
	v_cvt_i32_f32_e32 v142, v142                               // 00000001B1E4: 7F1C118E
	v_cvt_i32_f32_e32 v143, v143                               // 00000001B1E8: 7F1E118F
	v_perm_b32 v128, v129, v128, s53                           // 00000001B1EC: D1ED0080 00D70181
	v_perm_b32 v128, v130, v128, s54                           // 00000001B1F4: D1ED0080 00DB0182
	v_perm_b32 v128, v131, v128, s55                           // 00000001B1FC: D1ED0080 00DF0183
	v_perm_b32 v129, v133, v132, s53                           // 00000001B204: D1ED0081 00D70985
	v_perm_b32 v129, v134, v129, s54                           // 00000001B20C: D1ED0081 00DB0386
	v_perm_b32 v129, v135, v129, s55                           // 00000001B214: D1ED0081 00DF0387
	v_perm_b32 v130, v137, v136, s53                           // 00000001B21C: D1ED0082 00D71189
	v_perm_b32 v130, v138, v130, s54                           // 00000001B224: D1ED0082 00DB058A
	v_perm_b32 v130, v139, v130, s55                           // 00000001B22C: D1ED0082 00DF058B
	v_perm_b32 v131, v141, v140, s53                           // 00000001B234: D1ED0083 00D7198D
	v_perm_b32 v131, v142, v131, s54                           // 00000001B23C: D1ED0083 00DB078E
	v_perm_b32 v131, v143, v131, s55                           // 00000001B244: D1ED0083 00DF078F
	ds_write_b32 v10, v128 offset:29184                        // 00000001B24C: D81A7200 0000800A
	ds_write_b32 v10, v129 offset:30208                        // 00000001B254: D81A7600 0000810A
	ds_write_b32 v10, v130 offset:31232                        // 00000001B25C: D81A7A00 0000820A
	ds_write_b32 v10, v131 offset:32256                        // 00000001B264: D81A7E00 0000830A
	v_add_f32_e32 v216, v216, v184                             // 00000001B26C: 03B171D8
	v_add_f32_e32 v217, v217, v185                             // 00000001B270: 03B373D9
	v_add_f32_e32 v218, v218, v186                             // 00000001B274: 03B575DA
	v_add_f32_e32 v219, v219, v187                             // 00000001B278: 03B777DB
	v_add_f32_e32 v220, v220, v188                             // 00000001B27C: 03B979DC
	v_add_f32_e32 v221, v221, v189                             // 00000001B280: 03BB7BDD
	v_add_f32_e32 v222, v222, v190                             // 00000001B284: 03BD7DDE
	v_add_f32_e32 v223, v223, v191                             // 00000001B288: 03BF7FDF
	v_rcp_f32_e32 v45, v48                                     // 00000001B28C: 7E5A4530
	s_waitcnt lgkmcnt(0)                                       // 00000001B290: BF8CC07F
	s_barrier                                                  // 00000001B294: BF8A0000
	ds_read_b64 v[128:129], v9 offset:29184                    // 00000001B298: D8EC7200 80000009
	ds_read_b64 v[130:131], v9 offset:29312                    // 00000001B2A0: D8EC7280 82000009
	ds_read_b64 v[132:133], v9 offset:30208                    // 00000001B2A8: D8EC7600 84000009
	ds_read_b64 v[134:135], v9 offset:30336                    // 00000001B2B0: D8EC7680 86000009
	ds_read_b64 v[136:137], v9 offset:31232                    // 00000001B2B8: D8EC7A00 88000009
	ds_read_b64 v[138:139], v9 offset:31360                    // 00000001B2C0: D8EC7A80 8A000009
	ds_read_b64 v[140:141], v9 offset:32256                    // 00000001B2C8: D8EC7E00 8C000009
	ds_read_b64 v[142:143], v9 offset:32384                    // 00000001B2D0: D8EC7E80 8E000009
	v_mov_b32_dpp v64, v42 row_shr:4 row_mask:0xf bank_mask:0xf// 00000001B2D8: 7E8002FA FF01142A
	v_mov_b32_dpp v65, v42 row_shl:4 row_mask:0xf bank_mask:0xf// 00000001B2E0: 7E8202FA FF01042A
	v_cndmask_b32_e64 v248, v42, v64, s[44:45]                 // 00000001B2E8: D10000F8 00B2812A
	v_cndmask_b32_e64 v249, v65, v42, s[44:45]                 // 00000001B2F0: D10000F9 00B25541
	v_mov_b32_dpp v64, v248 row_shr:8 row_mask:0xf bank_mask:0xf// 00000001B2F8: 7E8002FA FF0118F8
	v_mov_b32_dpp v65, v248 row_shl:8 row_mask:0xf bank_mask:0xf// 00000001B300: 7E8202FA FF0108F8
	v_mov_b32_dpp v66, v249 row_shr:8 row_mask:0xf bank_mask:0xf// 00000001B308: 7E8402FA FF0118F9
	v_mov_b32_dpp v67, v249 row_shl:8 row_mask:0xf bank_mask:0xf// 00000001B310: 7E8602FA FF0108F9
	v_mov_b32_e32 v68, v248                                    // 00000001B318: 7E8803F8
	v_mov_b32_e32 v69, v249                                    // 00000001B31C: 7E8A03F9
	v_cndmask_b32_e64 v248, v68, v64, s[42:43]                 // 00000001B320: D10000F8 00AA8144
	v_cndmask_b32_e64 v250, v68, v65, s[78:79]                 // 00000001B328: D10000FA 013A8344
	v_cndmask_b32_e64 v249, v69, v66, s[42:43]                 // 00000001B330: D10000F9 00AA8545
	v_cndmask_b32_e64 v251, v69, v67, s[78:79]                 // 00000001B338: D10000FB 013A8745
	v_mov_b32_dpp v64, v57 row_shr:4 row_mask:0xf bank_mask:0xf// 00000001B340: 7E8002FA FF011439
	v_mov_b32_dpp v65, v57 row_shl:4 row_mask:0xf bank_mask:0xf// 00000001B348: 7E8202FA FF010439
	v_cndmask_b32_e64 v252, v57, v64, s[44:45]                 // 00000001B350: D10000FC 00B28139
	v_cndmask_b32_e64 v253, v65, v57, s[44:45]                 // 00000001B358: D10000FD 00B27341
	v_mov_b32_dpp v64, v252 row_shr:8 row_mask:0xf bank_mask:0xf// 00000001B360: 7E8002FA FF0118FC
	v_mov_b32_dpp v65, v252 row_shl:8 row_mask:0xf bank_mask:0xf// 00000001B368: 7E8202FA FF0108FC
	v_mov_b32_dpp v66, v253 row_shr:8 row_mask:0xf bank_mask:0xf// 00000001B370: 7E8402FA FF0118FD
	v_mov_b32_dpp v67, v253 row_shl:8 row_mask:0xf bank_mask:0xf// 00000001B378: 7E8602FA FF0108FD
	v_mov_b32_e32 v68, v252                                    // 00000001B380: 7E8803FC
	v_mov_b32_e32 v69, v253                                    // 00000001B384: 7E8A03FD
	v_cndmask_b32_e64 v252, v68, v64, s[42:43]                 // 00000001B388: D10000FC 00AA8144
	v_cndmask_b32_e64 v254, v68, v65, s[78:79]                 // 00000001B390: D10000FE 013A8344
	v_cndmask_b32_e64 v253, v69, v66, s[42:43]                 // 00000001B398: D10000FD 00AA8545
	v_cndmask_b32_e64 v255, v69, v67, s[78:79]                 // 00000001B3A0: D10000FF 013A8745
	v_cvt_f32_i32_e32 v144, v144                               // 00000001B3A8: 7F200B90
	v_cvt_f32_i32_e32 v145, v145                               // 00000001B3AC: 7F220B91
	v_cvt_f32_i32_e32 v146, v146                               // 00000001B3B0: 7F240B92
	v_cvt_f32_i32_e32 v147, v147                               // 00000001B3B4: 7F260B93
	v_cvt_f32_i32_e32 v148, v148                               // 00000001B3B8: 7F280B94
	v_cvt_f32_i32_e32 v149, v149                               // 00000001B3BC: 7F2A0B95
	v_cvt_f32_i32_e32 v150, v150                               // 00000001B3C0: 7F2C0B96
	v_cvt_f32_i32_e32 v151, v151                               // 00000001B3C4: 7F2E0B97
	v_cvt_f32_i32_e32 v152, v152                               // 00000001B3C8: 7F300B98
	v_cvt_f32_i32_e32 v153, v153                               // 00000001B3CC: 7F320B99
	v_cvt_f32_i32_e32 v154, v154                               // 00000001B3D0: 7F340B9A
	v_cvt_f32_i32_e32 v155, v155                               // 00000001B3D4: 7F360B9B
	v_cvt_f32_i32_e32 v156, v156                               // 00000001B3D8: 7F380B9C
	v_cvt_f32_i32_e32 v157, v157                               // 00000001B3DC: 7F3A0B9D
	v_cvt_f32_i32_e32 v158, v158                               // 00000001B3E0: 7F3C0B9E
	v_cvt_f32_i32_e32 v159, v159                               // 00000001B3E4: 7F3E0B9F
	v_mul_f32_e32 v144, v20, v144                              // 00000001B3E8: 0B212114
	v_mul_f32_e32 v145, v20, v145                              // 00000001B3EC: 0B232314
	v_mul_f32_e32 v146, v20, v146                              // 00000001B3F0: 0B252514
	v_mul_f32_e32 v147, v20, v147                              // 00000001B3F4: 0B272714
	v_mul_f32_e32 v148, v20, v148                              // 00000001B3F8: 0B292914
	v_mul_f32_e32 v149, v20, v149                              // 00000001B3FC: 0B2B2B14
	v_mul_f32_e32 v150, v20, v150                              // 00000001B400: 0B2D2D14
	v_mul_f32_e32 v151, v20, v151                              // 00000001B404: 0B2F2F14
	v_mul_f32_e32 v152, v20, v152                              // 00000001B408: 0B313114
	v_mul_f32_e32 v153, v20, v153                              // 00000001B40C: 0B333314
	v_mul_f32_e32 v154, v20, v154                              // 00000001B410: 0B353514
	v_mul_f32_e32 v155, v20, v155                              // 00000001B414: 0B373714
	v_mul_f32_e32 v156, v20, v156                              // 00000001B418: 0B393914
	v_mul_f32_e32 v157, v20, v157                              // 00000001B41C: 0B3B3B14
	v_mul_f32_e32 v158, v20, v158                              // 00000001B420: 0B3D3D14
	v_mul_f32_e32 v159, v20, v159                              // 00000001B424: 0B3F3F14
	v_mul_f32_dpp v144, v248, v144 quad_perm:[0,0,0,0] row_mask:0xf bank_mask:0xf// 00000001B428: 0B2120FA FF0000F8
	v_mul_f32_dpp v145, v248, v145 quad_perm:[1,1,1,1] row_mask:0xf bank_mask:0xf// 00000001B430: 0B2322FA FF0055F8
	v_mul_f32_dpp v146, v248, v146 quad_perm:[2,2,2,2] row_mask:0xf bank_mask:0xf// 00000001B438: 0B2524FA FF00AAF8
	v_mul_f32_dpp v147, v248, v147 quad_perm:[3,3,3,3] row_mask:0xf bank_mask:0xf// 00000001B440: 0B2726FA FF00FFF8
	v_mul_f32_dpp v148, v249, v148 quad_perm:[0,0,0,0] row_mask:0xf bank_mask:0xf// 00000001B448: 0B2928FA FF0000F9
	v_mul_f32_dpp v149, v249, v149 quad_perm:[1,1,1,1] row_mask:0xf bank_mask:0xf// 00000001B450: 0B2B2AFA FF0055F9
	v_mul_f32_dpp v150, v249, v150 quad_perm:[2,2,2,2] row_mask:0xf bank_mask:0xf// 00000001B458: 0B2D2CFA FF00AAF9
	v_mul_f32_dpp v151, v249, v151 quad_perm:[3,3,3,3] row_mask:0xf bank_mask:0xf// 00000001B460: 0B2F2EFA FF00FFF9
	v_mul_f32_dpp v152, v250, v152 quad_perm:[0,0,0,0] row_mask:0xf bank_mask:0xf// 00000001B468: 0B3130FA FF0000FA
	v_mul_f32_dpp v153, v250, v153 quad_perm:[1,1,1,1] row_mask:0xf bank_mask:0xf// 00000001B470: 0B3332FA FF0055FA
	v_mul_f32_dpp v154, v250, v154 quad_perm:[2,2,2,2] row_mask:0xf bank_mask:0xf// 00000001B478: 0B3534FA FF00AAFA
	v_mul_f32_dpp v155, v250, v155 quad_perm:[3,3,3,3] row_mask:0xf bank_mask:0xf// 00000001B480: 0B3736FA FF00FFFA
	v_mul_f32_dpp v156, v251, v156 quad_perm:[0,0,0,0] row_mask:0xf bank_mask:0xf// 00000001B488: 0B3938FA FF0000FB
	v_mul_f32_dpp v157, v251, v157 quad_perm:[1,1,1,1] row_mask:0xf bank_mask:0xf// 00000001B490: 0B3B3AFA FF0055FB
	v_mul_f32_dpp v158, v251, v158 quad_perm:[2,2,2,2] row_mask:0xf bank_mask:0xf// 00000001B498: 0B3D3CFA FF00AAFB
	v_mul_f32_dpp v159, v251, v159 quad_perm:[3,3,3,3] row_mask:0xf bank_mask:0xf// 00000001B4A0: 0B3F3EFA FF00FFFB
	s_cmp_le_i32 s90, s89                                      // 00000001B4A8: BF05595A
	s_cbranch_scc1 label_651D                                  // 00000001B4AC: BF850071
	v_mov_b32_e32 v66, 0xff800000                              // 00000001B4B0: 7E8402FF FF800000
	s_mov_b32 s60, s90                                         // 00000001B4B8: BEBC005A
	s_add_u32 s61, s89, 0xff                                   // 00000001B4BC: 803DFF59 000000FF
	v_mov_b32_e32 v64, s61                                     // 00000001B4C4: 7E80023D
	v_lshrrev_b32_e32 v240, 4, v0                              // 00000001B4C8: 21E00084
	v_mul_i32_i24_e32 v240, 4, v240                            // 00000001B4CC: 0DE1E084
	v_add_u32_e32 v240, s60, v240                              // 00000001B4D0: 69E1E03C
	s_mov_b32 s61, 2                                           // 00000001B4D4: BEBD0082
	s_mul_i32 s60, 16, s7                                      // 00000001B4D8: 923C0790
	v_sub_u32_e64 v240, v240, s61                              // 00000001B4DC: D13500F0 00007BF0
	v_add_u32_e32 v240, s60, v240                              // 00000001B4E4: 69E1E03C
	v_add_u32_e32 v241, 1, v240                                // 00000001B4E8: 69E3E081
	v_add_u32_e32 v242, 2, v240                                // 00000001B4EC: 69E5E082
	v_add_u32_e32 v243, 3, v240                                // 00000001B4F0: 69E7E083
	v_cmp_le_u32_e64 s[40:41], v240, v64                       // 00000001B4F4: D0CB0028 000281F0
	v_add_u32_e32 v240, 64, v240                               // 00000001B4FC: 69E1E0C0
	s_nop 0                                                    // 00000001B500: BF800000
	v_cndmask_b32_e64 v144, v66, v144, s[40:41]                // 00000001B504: D1000090 00A32142
	v_cmp_le_u32_e64 s[40:41], v241, v64                       // 00000001B50C: D0CB0028 000281F1
	v_add_u32_e32 v241, 64, v241                               // 00000001B514: 69E3E2C0
	s_nop 0                                                    // 00000001B518: BF800000
	v_cndmask_b32_e64 v145, v66, v145, s[40:41]                // 00000001B51C: D1000091 00A32342
	v_cmp_le_u32_e64 s[40:41], v242, v64                       // 00000001B524: D0CB0028 000281F2
	v_add_u32_e32 v242, 64, v242                               // 00000001B52C: 69E5E4C0
	s_nop 0                                                    // 00000001B530: BF800000
	v_cndmask_b32_e64 v146, v66, v146, s[40:41]                // 00000001B534: D1000092 00A32542
	v_cmp_le_u32_e64 s[40:41], v243, v64                       // 00000001B53C: D0CB0028 000281F3
	v_add_u32_e32 v243, 64, v243                               // 00000001B544: 69E7E6C0
	s_nop 0                                                    // 00000001B548: BF800000
	v_cndmask_b32_e64 v147, v66, v147, s[40:41]                // 00000001B54C: D1000093 00A32742
	v_cmp_le_u32_e64 s[40:41], v240, v64                       // 00000001B554: D0CB0028 000281F0
	v_add_u32_e32 v240, 64, v240                               // 00000001B55C: 69E1E0C0
	s_nop 0                                                    // 00000001B560: BF800000
	v_cndmask_b32_e64 v148, v66, v148, s[40:41]                // 00000001B564: D1000094 00A32942
	v_cmp_le_u32_e64 s[40:41], v241, v64                       // 00000001B56C: D0CB0028 000281F1
	v_add_u32_e32 v241, 64, v241                               // 00000001B574: 69E3E2C0
	s_nop 0                                                    // 00000001B578: BF800000
	v_cndmask_b32_e64 v149, v66, v149, s[40:41]                // 00000001B57C: D1000095 00A32B42
	v_cmp_le_u32_e64 s[40:41], v242, v64                       // 00000001B584: D0CB0028 000281F2
	v_add_u32_e32 v242, 64, v242                               // 00000001B58C: 69E5E4C0
	s_nop 0                                                    // 00000001B590: BF800000
	v_cndmask_b32_e64 v150, v66, v150, s[40:41]                // 00000001B594: D1000096 00A32D42
	v_cmp_le_u32_e64 s[40:41], v243, v64                       // 00000001B59C: D0CB0028 000281F3
	v_add_u32_e32 v243, 64, v243                               // 00000001B5A4: 69E7E6C0
	s_nop 0                                                    // 00000001B5A8: BF800000
	v_cndmask_b32_e64 v151, v66, v151, s[40:41]                // 00000001B5AC: D1000097 00A32F42
	v_cmp_le_u32_e64 s[40:41], v240, v64                       // 00000001B5B4: D0CB0028 000281F0
	v_add_u32_e32 v240, 64, v240                               // 00000001B5BC: 69E1E0C0
	s_nop 0                                                    // 00000001B5C0: BF800000
	v_cndmask_b32_e64 v152, v66, v152, s[40:41]                // 00000001B5C4: D1000098 00A33142
	v_cmp_le_u32_e64 s[40:41], v241, v64                       // 00000001B5CC: D0CB0028 000281F1
	v_add_u32_e32 v241, 64, v241                               // 00000001B5D4: 69E3E2C0
	s_nop 0                                                    // 00000001B5D8: BF800000
	v_cndmask_b32_e64 v153, v66, v153, s[40:41]                // 00000001B5DC: D1000099 00A33342
	v_cmp_le_u32_e64 s[40:41], v242, v64                       // 00000001B5E4: D0CB0028 000281F2
	v_add_u32_e32 v242, 64, v242                               // 00000001B5EC: 69E5E4C0
	s_nop 0                                                    // 00000001B5F0: BF800000
	v_cndmask_b32_e64 v154, v66, v154, s[40:41]                // 00000001B5F4: D100009A 00A33542
	v_cmp_le_u32_e64 s[40:41], v243, v64                       // 00000001B5FC: D0CB0028 000281F3
	v_add_u32_e32 v243, 64, v243                               // 00000001B604: 69E7E6C0
	s_nop 0                                                    // 00000001B608: BF800000
	v_cndmask_b32_e64 v155, v66, v155, s[40:41]                // 00000001B60C: D100009B 00A33742
	v_cmp_le_u32_e64 s[40:41], v240, v64                       // 00000001B614: D0CB0028 000281F0
	v_add_u32_e32 v240, 64, v240                               // 00000001B61C: 69E1E0C0
	s_nop 0                                                    // 00000001B620: BF800000
	v_cndmask_b32_e64 v156, v66, v156, s[40:41]                // 00000001B624: D100009C 00A33942
	v_cmp_le_u32_e64 s[40:41], v241, v64                       // 00000001B62C: D0CB0028 000281F1
	v_add_u32_e32 v241, 64, v241                               // 00000001B634: 69E3E2C0
	s_nop 0                                                    // 00000001B638: BF800000
	v_cndmask_b32_e64 v157, v66, v157, s[40:41]                // 00000001B63C: D100009D 00A33B42
	v_cmp_le_u32_e64 s[40:41], v242, v64                       // 00000001B644: D0CB0028 000281F2
	v_add_u32_e32 v242, 64, v242                               // 00000001B64C: 69E5E4C0
	s_nop 0                                                    // 00000001B650: BF800000
	v_cndmask_b32_e64 v158, v66, v158, s[40:41]                // 00000001B654: D100009E 00A33D42
	v_cmp_le_u32_e64 s[40:41], v243, v64                       // 00000001B65C: D0CB0028 000281F3
	v_add_u32_e32 v243, 64, v243                               // 00000001B664: 69E7E6C0
	s_nop 0                                                    // 00000001B668: BF800000
	v_cndmask_b32_e64 v159, v66, v159, s[40:41]                // 00000001B66C: D100009F 00A33F42

000000000001b674 <label_651D>:
	s_add_u32 s90, s91, s90                                    // 00000001B674: 805A5A5B
	s_and_b32 s60, s72, 0xff                                   // 00000001B678: 863CFF48 000000FF
	v_mov_b32_e32 v65, s60                                     // 00000001B680: 7E82023C
	v_lshrrev_b32_e32 v240, 4, v0                              // 00000001B684: 21E00084
	v_mul_i32_i24_e32 v240, 4, v240                            // 00000001B688: 0DE1E084
	s_mul_i32 s60, s7, 16                                      // 00000001B68C: 923C9007
	v_add_u32_e32 v240, s60, v240                              // 00000001B690: 69E1E03C
	v_add_u32_e32 v241, 1, v240                                // 00000001B694: 69E3E081
	v_add_u32_e32 v242, 2, v240                                // 00000001B698: 69E5E082
	v_add_u32_e32 v243, 3, v240                                // 00000001B69C: 69E7E083
	v_mov_b32_e32 v64, 0xff800000                              // 00000001B6A0: 7E8002FF FF800000
	v_cmp_lt_u32_e64 s[40:41], v240, v65                       // 00000001B6A8: D0C90028 000283F0
	v_add_u32_e32 v240, 64, v240                               // 00000001B6B0: 69E1E0C0
	s_nop 0                                                    // 00000001B6B4: BF800000
	v_cndmask_b32_e64 v144, v64, v144, s[40:41]                // 00000001B6B8: D1000090 00A32140
	v_cmp_lt_u32_e64 s[40:41], v241, v65                       // 00000001B6C0: D0C90028 000283F1
	v_add_u32_e32 v241, 64, v241                               // 00000001B6C8: 69E3E2C0
	s_nop 0                                                    // 00000001B6CC: BF800000
	v_cndmask_b32_e64 v145, v64, v145, s[40:41]                // 00000001B6D0: D1000091 00A32340
	v_cmp_lt_u32_e64 s[40:41], v242, v65                       // 00000001B6D8: D0C90028 000283F2
	v_add_u32_e32 v242, 64, v242                               // 00000001B6E0: 69E5E4C0
	s_nop 0                                                    // 00000001B6E4: BF800000
	v_cndmask_b32_e64 v146, v64, v146, s[40:41]                // 00000001B6E8: D1000092 00A32540
	v_cmp_lt_u32_e64 s[40:41], v243, v65                       // 00000001B6F0: D0C90028 000283F3
	v_add_u32_e32 v243, 64, v243                               // 00000001B6F8: 69E7E6C0
	s_nop 0                                                    // 00000001B6FC: BF800000
	v_cndmask_b32_e64 v147, v64, v147, s[40:41]                // 00000001B700: D1000093 00A32740
	v_cmp_lt_u32_e64 s[40:41], v240, v65                       // 00000001B708: D0C90028 000283F0
	v_add_u32_e32 v240, 64, v240                               // 00000001B710: 69E1E0C0
	s_nop 0                                                    // 00000001B714: BF800000
	v_cndmask_b32_e64 v148, v64, v148, s[40:41]                // 00000001B718: D1000094 00A32940
	v_cmp_lt_u32_e64 s[40:41], v241, v65                       // 00000001B720: D0C90028 000283F1
	v_add_u32_e32 v241, 64, v241                               // 00000001B728: 69E3E2C0
	s_nop 0                                                    // 00000001B72C: BF800000
	v_cndmask_b32_e64 v149, v64, v149, s[40:41]                // 00000001B730: D1000095 00A32B40
	v_cmp_lt_u32_e64 s[40:41], v242, v65                       // 00000001B738: D0C90028 000283F2
	v_add_u32_e32 v242, 64, v242                               // 00000001B740: 69E5E4C0
	s_nop 0                                                    // 00000001B744: BF800000
	v_cndmask_b32_e64 v150, v64, v150, s[40:41]                // 00000001B748: D1000096 00A32D40
	v_cmp_lt_u32_e64 s[40:41], v243, v65                       // 00000001B750: D0C90028 000283F3
	v_add_u32_e32 v243, 64, v243                               // 00000001B758: 69E7E6C0
	s_nop 0                                                    // 00000001B75C: BF800000
	v_cndmask_b32_e64 v151, v64, v151, s[40:41]                // 00000001B760: D1000097 00A32F40
	v_cmp_lt_u32_e64 s[40:41], v240, v65                       // 00000001B768: D0C90028 000283F0
	v_add_u32_e32 v240, 64, v240                               // 00000001B770: 69E1E0C0
	s_nop 0                                                    // 00000001B774: BF800000
	v_cndmask_b32_e64 v152, v64, v152, s[40:41]                // 00000001B778: D1000098 00A33140
	v_cmp_lt_u32_e64 s[40:41], v241, v65                       // 00000001B780: D0C90028 000283F1
	v_add_u32_e32 v241, 64, v241                               // 00000001B788: 69E3E2C0
	s_nop 0                                                    // 00000001B78C: BF800000
	v_cndmask_b32_e64 v153, v64, v153, s[40:41]                // 00000001B790: D1000099 00A33340
	v_cmp_lt_u32_e64 s[40:41], v242, v65                       // 00000001B798: D0C90028 000283F2
	v_add_u32_e32 v242, 64, v242                               // 00000001B7A0: 69E5E4C0
	s_nop 0                                                    // 00000001B7A4: BF800000
	v_cndmask_b32_e64 v154, v64, v154, s[40:41]                // 00000001B7A8: D100009A 00A33540
	v_cmp_lt_u32_e64 s[40:41], v243, v65                       // 00000001B7B0: D0C90028 000283F3
	v_add_u32_e32 v243, 64, v243                               // 00000001B7B8: 69E7E6C0
	s_nop 0                                                    // 00000001B7BC: BF800000
	v_cndmask_b32_e64 v155, v64, v155, s[40:41]                // 00000001B7C0: D100009B 00A33740
	v_cmp_lt_u32_e64 s[40:41], v240, v65                       // 00000001B7C8: D0C90028 000283F0
	v_add_u32_e32 v240, 64, v240                               // 00000001B7D0: 69E1E0C0
	s_nop 0                                                    // 00000001B7D4: BF800000
	v_cndmask_b32_e64 v156, v64, v156, s[40:41]                // 00000001B7D8: D100009C 00A33940
	v_cmp_lt_u32_e64 s[40:41], v241, v65                       // 00000001B7E0: D0C90028 000283F1
	v_add_u32_e32 v241, 64, v241                               // 00000001B7E8: 69E3E2C0
	s_nop 0                                                    // 00000001B7EC: BF800000
	v_cndmask_b32_e64 v157, v64, v157, s[40:41]                // 00000001B7F0: D100009D 00A33B40
	v_cmp_lt_u32_e64 s[40:41], v242, v65                       // 00000001B7F8: D0C90028 000283F2
	v_add_u32_e32 v242, 64, v242                               // 00000001B800: 69E5E4C0
	s_nop 0                                                    // 00000001B804: BF800000
	v_cndmask_b32_e64 v158, v64, v158, s[40:41]                // 00000001B808: D100009E 00A33D40
	v_cmp_lt_u32_e64 s[40:41], v243, v65                       // 00000001B810: D0C90028 000283F3
	v_add_u32_e32 v243, 64, v243                               // 00000001B818: 69E7E6C0
	s_nop 0                                                    // 00000001B81C: BF800000
	v_cndmask_b32_e64 v159, v64, v159, s[40:41]                // 00000001B820: D100009F 00A33F40
	v_mov_b32_e32 v48, v144                                    // 00000001B828: 7E600390
	v_max3_f32 v48, v144, v145, v48                            // 00000001B82C: D1D30030 04C32390
	v_max3_f32 v48, v146, v147, v48                            // 00000001B834: D1D30030 04C32792
	v_max3_f32 v48, v148, v149, v48                            // 00000001B83C: D1D30030 04C32B94
	v_max3_f32 v48, v150, v151, v48                            // 00000001B844: D1D30030 04C32F96
	v_max3_f32 v48, v152, v153, v48                            // 00000001B84C: D1D30030 04C33398
	v_max3_f32 v48, v154, v155, v48                            // 00000001B854: D1D30030 04C3379A
	v_max3_f32 v48, v156, v157, v48                            // 00000001B85C: D1D30030 04C33B9C
	v_max3_f32 v48, v158, v159, v48                            // 00000001B864: D1D30030 04C33F9E
	ds_write_b32 v8, v48 offset:16896                          // 00000001B86C: D81A4200 00003008
	v_mul_f32_e32 v224, v51, v224                              // 00000001B874: 0BC1C133
	v_mul_f32_e32 v225, v51, v225                              // 00000001B878: 0BC3C333
	v_mul_f32_e32 v226, v51, v226                              // 00000001B87C: 0BC5C533
	v_mul_f32_e32 v227, v51, v227                              // 00000001B880: 0BC7C733
	v_mul_f32_e32 v228, v51, v228                              // 00000001B884: 0BC9C933
	v_mul_f32_e32 v229, v51, v229                              // 00000001B888: 0BCBCB33
	v_mul_f32_e32 v230, v51, v230                              // 00000001B88C: 0BCDCD33
	v_mul_f32_e32 v231, v51, v231                              // 00000001B890: 0BCFCF33
	s_waitcnt lgkmcnt(0)                                       // 00000001B894: BF8CC07F
	s_barrier                                                  // 00000001B898: BF8A0000
	ds_read_b32 v64, v7 offset:16896                           // 00000001B89C: D86C4200 40000007
	ds_read_b32 v65, v7 offset:16960                           // 00000001B8A4: D86C4240 41000007
	ds_read_b32 v66, v7 offset:17024                           // 00000001B8AC: D86C4280 42000007
	ds_read_b32 v67, v7 offset:17088                           // 00000001B8B4: D86C42C0 43000007
	ds_read_b32 v68, v7 offset:17152                           // 00000001B8BC: D86C4300 44000007
	ds_read_b32 v69, v7 offset:17216                           // 00000001B8C4: D86C4340 45000007
	ds_read_b32 v70, v7 offset:17280                           // 00000001B8CC: D86C4380 46000007
	ds_read_b32 v71, v7 offset:17344                           // 00000001B8D4: D86C43C0 47000007
	ds_read_b32 v72, v7 offset:17408                           // 00000001B8DC: D86C4400 48000007
	ds_read_b32 v73, v7 offset:17472                           // 00000001B8E4: D86C4440 49000007
	ds_read_b32 v74, v7 offset:17536                           // 00000001B8EC: D86C4480 4A000007
	ds_read_b32 v75, v7 offset:17600                           // 00000001B8F4: D86C44C0 4B000007
	ds_read_b32 v76, v7 offset:17664                           // 00000001B8FC: D86C4500 4C000007
	ds_read_b32 v77, v7 offset:17728                           // 00000001B904: D86C4540 4D000007
	ds_read_b32 v78, v7 offset:17792                           // 00000001B90C: D86C4580 4E000007
	ds_read_b32 v79, v7 offset:17856                           // 00000001B914: D86C45C0 4F000007
	v_cvt_f32_i32_e32 v192, v192                               // 00000001B91C: 7F800BC0
	v_cvt_f32_i32_e32 v193, v193                               // 00000001B920: 7F820BC1
	v_cvt_f32_i32_e32 v194, v194                               // 00000001B924: 7F840BC2
	v_cvt_f32_i32_e32 v195, v195                               // 00000001B928: 7F860BC3
	v_cvt_f32_i32_e32 v196, v196                               // 00000001B92C: 7F880BC4
	v_cvt_f32_i32_e32 v197, v197                               // 00000001B930: 7F8A0BC5
	v_cvt_f32_i32_e32 v198, v198                               // 00000001B934: 7F8C0BC6
	v_cvt_f32_i32_e32 v199, v199                               // 00000001B938: 7F8E0BC7
	v_mul_f32_e32 v192, v46, v192                              // 00000001B93C: 0B81812E
	v_mul_f32_e32 v193, v46, v193                              // 00000001B940: 0B83832E
	v_mul_f32_e32 v194, v46, v194                              // 00000001B944: 0B85852E
	v_mul_f32_e32 v195, v46, v195                              // 00000001B948: 0B87872E
	v_mul_f32_e32 v196, v46, v196                              // 00000001B94C: 0B89892E
	v_mul_f32_e32 v197, v46, v197                              // 00000001B950: 0B8B8B2E
	v_mul_f32_e32 v198, v46, v198                              // 00000001B954: 0B8D8D2E
	v_mul_f32_e32 v199, v46, v199                              // 00000001B958: 0B8F8F2E
	s_waitcnt lgkmcnt(0)                                       // 00000001B95C: BF8CC07F
	v_max3_f32 v48, v64, v65, v48                              // 00000001B960: D1D30030 04C28340
	v_max3_f32 v48, v66, v67, v48                              // 00000001B968: D1D30030 04C28742
	v_max3_f32 v48, v68, v69, v48                              // 00000001B970: D1D30030 04C28B44
	v_max3_f32 v48, v70, v71, v48                              // 00000001B978: D1D30030 04C28F46
	v_max3_f32 v48, v72, v73, v48                              // 00000001B980: D1D30030 04C29348
	v_max3_f32 v48, v74, v75, v48                              // 00000001B988: D1D30030 04C2974A
	v_max3_f32 v48, v76, v77, v48                              // 00000001B990: D1D30030 04C29B4C
	v_max3_f32 v48, v78, v79, v48                              // 00000001B998: D1D30030 04C29F4E
	v_mov_b32_e32 v64, 0xff800000                              // 00000001B9A0: 7E8002FF FF800000
	v_cmp_eq_u32_e64 s[40:41], v64, v13                        // 00000001B9A8: D0CA0028 00021B40
	s_nop 1                                                    // 00000001B9B0: BF800001
	v_max_f32_e32 v15, v48, v13                                // 00000001B9B4: 161E1B30
	v_mul_f32_e32 v53, s64, v15                                // 00000001B9B8: 0A6A1E40
	v_fma_f32 v144, v144, s64, -v53                            // 00000001B9BC: D1CB0090 84D48190
	v_fma_f32 v145, v145, s64, -v53                            // 00000001B9C4: D1CB0091 84D48191
	v_fma_f32 v146, v146, s64, -v53                            // 00000001B9CC: D1CB0092 84D48192
	v_fma_f32 v147, v147, s64, -v53                            // 00000001B9D4: D1CB0093 84D48193
	v_fma_f32 v148, v148, s64, -v53                            // 00000001B9DC: D1CB0094 84D48194
	v_fma_f32 v149, v149, s64, -v53                            // 00000001B9E4: D1CB0095 84D48195
	v_fma_f32 v150, v150, s64, -v53                            // 00000001B9EC: D1CB0096 84D48196
	v_fma_f32 v151, v151, s64, -v53                            // 00000001B9F4: D1CB0097 84D48197
	v_fma_f32 v152, v152, s64, -v53                            // 00000001B9FC: D1CB0098 84D48198
	v_fma_f32 v153, v153, s64, -v53                            // 00000001BA04: D1CB0099 84D48199
	v_fma_f32 v154, v154, s64, -v53                            // 00000001BA0C: D1CB009A 84D4819A
	v_fma_f32 v155, v155, s64, -v53                            // 00000001BA14: D1CB009B 84D4819B
	v_fma_f32 v156, v156, s64, -v53                            // 00000001BA1C: D1CB009C 84D4819C
	v_fma_f32 v157, v157, s64, -v53                            // 00000001BA24: D1CB009D 84D4819D
	v_fma_f32 v158, v158, s64, -v53                            // 00000001BA2C: D1CB009E 84D4819E
	v_fma_f32 v159, v159, s64, -v53                            // 00000001BA34: D1CB009F 84D4819F
	v_exp_f32_e32 v144, v144                                   // 00000001BA3C: 7F204190
	v_exp_f32_e32 v145, v145                                   // 00000001BA40: 7F224191
	v_exp_f32_e32 v146, v146                                   // 00000001BA44: 7F244192
	v_exp_f32_e32 v147, v147                                   // 00000001BA48: 7F264193
	v_exp_f32_e32 v148, v148                                   // 00000001BA4C: 7F284194
	v_exp_f32_e32 v149, v149                                   // 00000001BA50: 7F2A4195
	v_exp_f32_e32 v150, v150                                   // 00000001BA54: 7F2C4196
	v_exp_f32_e32 v151, v151                                   // 00000001BA58: 7F2E4197
	v_exp_f32_e32 v152, v152                                   // 00000001BA5C: 7F304198
	v_exp_f32_e32 v153, v153                                   // 00000001BA60: 7F324199
	v_exp_f32_e32 v154, v154                                   // 00000001BA64: 7F34419A
	v_exp_f32_e32 v155, v155                                   // 00000001BA68: 7F36419B
	v_exp_f32_e32 v156, v156                                   // 00000001BA6C: 7F38419C
	v_exp_f32_e32 v157, v157                                   // 00000001BA70: 7F3A419D
	v_exp_f32_e32 v158, v158                                   // 00000001BA74: 7F3C419E
	v_exp_f32_e32 v159, v159                                   // 00000001BA78: 7F3E419F
	v_mul_f32_dpp v240, v252, v144 quad_perm:[0,0,0,0] row_mask:0xf bank_mask:0xf// 00000001BA7C: 0BE120FA FF0000FC
	v_mul_f32_dpp v241, v252, v145 quad_perm:[1,1,1,1] row_mask:0xf bank_mask:0xf// 00000001BA84: 0BE322FA FF0055FC
	v_mul_f32_dpp v242, v252, v146 quad_perm:[2,2,2,2] row_mask:0xf bank_mask:0xf// 00000001BA8C: 0BE524FA FF00AAFC
	v_mul_f32_dpp v243, v252, v147 quad_perm:[3,3,3,3] row_mask:0xf bank_mask:0xf// 00000001BA94: 0BE726FA FF00FFFC
	v_mul_f32_dpp v244, v253, v148 quad_perm:[0,0,0,0] row_mask:0xf bank_mask:0xf// 00000001BA9C: 0BE928FA FF0000FD
	v_mul_f32_dpp v245, v253, v149 quad_perm:[1,1,1,1] row_mask:0xf bank_mask:0xf// 00000001BAA4: 0BEB2AFA FF0055FD
	v_mul_f32_dpp v246, v253, v150 quad_perm:[2,2,2,2] row_mask:0xf bank_mask:0xf// 00000001BAAC: 0BED2CFA FF00AAFD
	v_mul_f32_dpp v247, v253, v151 quad_perm:[3,3,3,3] row_mask:0xf bank_mask:0xf// 00000001BAB4: 0BEF2EFA FF00FFFD
	v_mul_f32_dpp v248, v254, v152 quad_perm:[0,0,0,0] row_mask:0xf bank_mask:0xf// 00000001BABC: 0BF130FA FF0000FE
	v_mul_f32_dpp v249, v254, v153 quad_perm:[1,1,1,1] row_mask:0xf bank_mask:0xf// 00000001BAC4: 0BF332FA FF0055FE
	v_mul_f32_dpp v250, v254, v154 quad_perm:[2,2,2,2] row_mask:0xf bank_mask:0xf// 00000001BACC: 0BF534FA FF00AAFE
	v_mul_f32_dpp v251, v254, v155 quad_perm:[3,3,3,3] row_mask:0xf bank_mask:0xf// 00000001BAD4: 0BF736FA FF00FFFE
	v_mul_f32_dpp v252, v255, v156 quad_perm:[0,0,0,0] row_mask:0xf bank_mask:0xf// 00000001BADC: 0BF938FA FF0000FF
	v_mul_f32_dpp v253, v255, v157 quad_perm:[1,1,1,1] row_mask:0xf bank_mask:0xf// 00000001BAE4: 0BFB3AFA FF0055FF
	v_mul_f32_dpp v254, v255, v158 quad_perm:[2,2,2,2] row_mask:0xf bank_mask:0xf// 00000001BAEC: 0BFD3CFA FF00AAFF
	v_mul_f32_dpp v255, v255, v159 quad_perm:[3,3,3,3] row_mask:0xf bank_mask:0xf// 00000001BAF4: 0BFF3EFA FF00FFFF
	v_mov_b32_e32 v48, 0x358637bd                              // 00000001BAFC: 7E6002FF 358637BD
	v_max3_f32 v48, |v240|, |v241|, v48                        // 00000001BB04: D1D30330 04C3E3F0
	v_max3_f32 v48, |v242|, |v243|, v48                        // 00000001BB0C: D1D30330 04C3E7F2
	v_max3_f32 v48, |v244|, |v245|, v48                        // 00000001BB14: D1D30330 04C3EBF4
	v_max3_f32 v48, |v246|, |v247|, v48                        // 00000001BB1C: D1D30330 04C3EFF6
	v_max3_f32 v48, |v248|, |v249|, v48                        // 00000001BB24: D1D30330 04C3F3F8
	v_max3_f32 v48, |v250|, |v251|, v48                        // 00000001BB2C: D1D30330 04C3F7FA
	v_max3_f32 v48, |v252|, |v253|, v48                        // 00000001BB34: D1D30330 04C3FBFC
	v_max3_f32 v48, |v254|, |v255|, v48                        // 00000001BB3C: D1D30330 04C3FFFE
	ds_write_b32 v8, v48 offset:20992                          // 00000001BB44: D81A5200 00003008
	v_sub_f32_e32 v51, v13, v15                                // 00000001BB4C: 04661F0D
	v_cndmask_b32_e64 v51, v51, 0, s[40:41]                    // 00000001BB50: D1000033 00A10133
	v_mov_b32_e32 v13, v15                                     // 00000001BB58: 7E1A030F
	v_mul_f32_e32 v51, s64, v51                                // 00000001BB5C: 0A666640
	v_exp_f32_e32 v51, v51                                     // 00000001BB60: 7E664133
	s_waitcnt lgkmcnt(0)                                       // 00000001BB64: BF8CC07F
	s_barrier                                                  // 00000001BB68: BF8A0000
	ds_read_b32 v64, v7 offset:20992                           // 00000001BB6C: D86C5200 40000007
	ds_read_b32 v65, v7 offset:21056                           // 00000001BB74: D86C5240 41000007
	ds_read_b32 v66, v7 offset:21120                           // 00000001BB7C: D86C5280 42000007
	ds_read_b32 v67, v7 offset:21184                           // 00000001BB84: D86C52C0 43000007
	ds_read_b32 v68, v7 offset:21248                           // 00000001BB8C: D86C5300 44000007
	ds_read_b32 v69, v7 offset:21312                           // 00000001BB94: D86C5340 45000007
	ds_read_b32 v70, v7 offset:21376                           // 00000001BB9C: D86C5380 46000007
	ds_read_b32 v71, v7 offset:21440                           // 00000001BBA4: D86C53C0 47000007
	ds_read_b32 v72, v7 offset:21504                           // 00000001BBAC: D86C5400 48000007
	ds_read_b32 v73, v7 offset:21568                           // 00000001BBB4: D86C5440 49000007
	ds_read_b32 v74, v7 offset:21632                           // 00000001BBBC: D86C5480 4A000007
	ds_read_b32 v75, v7 offset:21696                           // 00000001BBC4: D86C54C0 4B000007
	ds_read_b32 v76, v7 offset:21760                           // 00000001BBCC: D86C5500 4C000007
	ds_read_b32 v77, v7 offset:21824                           // 00000001BBD4: D86C5540 4D000007
	ds_read_b32 v78, v7 offset:21888                           // 00000001BBDC: D86C5580 4E000007
	ds_read_b32 v79, v7 offset:21952                           // 00000001BBE4: D86C55C0 4F000007
	v_mul_f32_e32 v40, v51, v40                                // 00000001BBEC: 0A505133
	v_mov_b32_e32 v15, v144                                    // 00000001BBF0: 7E1E0390
	v_add_f32_e32 v15, v145, v15                               // 00000001BBF4: 021E1F91
	v_add_f32_e32 v15, v146, v15                               // 00000001BBF8: 021E1F92
	v_add_f32_e32 v15, v147, v15                               // 00000001BBFC: 021E1F93
	v_add_f32_e32 v15, v148, v15                               // 00000001BC00: 021E1F94
	v_add_f32_e32 v15, v149, v15                               // 00000001BC04: 021E1F95
	v_add_f32_e32 v15, v150, v15                               // 00000001BC08: 021E1F96
	v_add_f32_e32 v15, v151, v15                               // 00000001BC0C: 021E1F97
	v_add_f32_e32 v15, v152, v15                               // 00000001BC10: 021E1F98
	v_add_f32_e32 v15, v153, v15                               // 00000001BC14: 021E1F99
	v_add_f32_e32 v15, v154, v15                               // 00000001BC18: 021E1F9A
	v_add_f32_e32 v15, v155, v15                               // 00000001BC1C: 021E1F9B
	v_add_f32_e32 v15, v156, v15                               // 00000001BC20: 021E1F9C
	v_add_f32_e32 v15, v157, v15                               // 00000001BC24: 021E1F9D
	v_add_f32_e32 v15, v158, v15                               // 00000001BC28: 021E1F9E
	v_add_f32_e32 v15, v159, v15                               // 00000001BC2C: 021E1F9F
	v_add_f32_e32 v40, v15, v40                                // 00000001BC30: 0250510F
	s_waitcnt lgkmcnt(0)                                       // 00000001BC34: BF8CC07F
	v_max3_f32 v48, |v64|, |v65|, v48                          // 00000001BC38: D1D30330 04C28340
	v_max3_f32 v48, |v66|, |v67|, v48                          // 00000001BC40: D1D30330 04C28742
	v_max3_f32 v48, |v68|, |v69|, v48                          // 00000001BC48: D1D30330 04C28B44
	v_max3_f32 v48, |v70|, |v71|, v48                          // 00000001BC50: D1D30330 04C28F46
	v_max3_f32 v48, |v72|, |v73|, v48                          // 00000001BC58: D1D30330 04C29348
	v_max3_f32 v48, |v74|, |v75|, v48                          // 00000001BC60: D1D30330 04C2974A
	v_max3_f32 v48, |v76|, |v77|, v48                          // 00000001BC68: D1D30330 04C29B4C
	v_max3_f32 v48, |v78|, |v79|, v48                          // 00000001BC70: D1D30330 04C29F4E
	s_nop 2                                                    // 00000001BC78: BF800002
	v_rcp_f32_e32 v48, v48                                     // 00000001BC7C: 7E604530
	s_nop 1                                                    // 00000001BC80: BF800001
	v_mul_f32_e32 v48, 0x42fe0000, v48                         // 00000001BC84: 0A6060FF 42FE0000
	v_mul_f32_e32 v144, v48, v240                              // 00000001BC8C: 0B21E130
	v_mul_f32_e32 v145, v48, v241                              // 00000001BC90: 0B23E330
	v_mul_f32_e32 v146, v48, v242                              // 00000001BC94: 0B25E530
	v_mul_f32_e32 v147, v48, v243                              // 00000001BC98: 0B27E730
	v_mul_f32_e32 v148, v48, v244                              // 00000001BC9C: 0B29E930
	v_mul_f32_e32 v149, v48, v245                              // 00000001BCA0: 0B2BEB30
	v_mul_f32_e32 v150, v48, v246                              // 00000001BCA4: 0B2DED30
	v_mul_f32_e32 v151, v48, v247                              // 00000001BCA8: 0B2FEF30
	v_mul_f32_e32 v152, v48, v248                              // 00000001BCAC: 0B31F130
	v_mul_f32_e32 v153, v48, v249                              // 00000001BCB0: 0B33F330
	v_mul_f32_e32 v154, v48, v250                              // 00000001BCB4: 0B35F530
	v_mul_f32_e32 v155, v48, v251                              // 00000001BCB8: 0B37F730
	v_mul_f32_e32 v156, v48, v252                              // 00000001BCBC: 0B39F930
	v_mul_f32_e32 v157, v48, v253                              // 00000001BCC0: 0B3BFB30
	v_mul_f32_e32 v158, v48, v254                              // 00000001BCC4: 0B3DFD30
	v_mul_f32_e32 v159, v48, v255                              // 00000001BCC8: 0B3FFF30
	v_cvt_i32_f32_e32 v144, v144                               // 00000001BCCC: 7F201190
	v_cvt_i32_f32_e32 v145, v145                               // 00000001BCD0: 7F221191
	v_cvt_i32_f32_e32 v146, v146                               // 00000001BCD4: 7F241192
	v_cvt_i32_f32_e32 v147, v147                               // 00000001BCD8: 7F261193
	v_cvt_i32_f32_e32 v148, v148                               // 00000001BCDC: 7F281194
	v_cvt_i32_f32_e32 v149, v149                               // 00000001BCE0: 7F2A1195
	v_cvt_i32_f32_e32 v150, v150                               // 00000001BCE4: 7F2C1196
	v_cvt_i32_f32_e32 v151, v151                               // 00000001BCE8: 7F2E1197
	v_cvt_i32_f32_e32 v152, v152                               // 00000001BCEC: 7F301198
	v_cvt_i32_f32_e32 v153, v153                               // 00000001BCF0: 7F321199
	v_cvt_i32_f32_e32 v154, v154                               // 00000001BCF4: 7F34119A
	v_cvt_i32_f32_e32 v155, v155                               // 00000001BCF8: 7F36119B
	v_cvt_i32_f32_e32 v156, v156                               // 00000001BCFC: 7F38119C
	v_cvt_i32_f32_e32 v157, v157                               // 00000001BD00: 7F3A119D
	v_cvt_i32_f32_e32 v158, v158                               // 00000001BD04: 7F3C119E
	v_cvt_i32_f32_e32 v159, v159                               // 00000001BD08: 7F3E119F
	v_perm_b32 v144, v145, v144, s53                           // 00000001BD0C: D1ED0090 00D72191
	v_perm_b32 v144, v146, v144, s54                           // 00000001BD14: D1ED0090 00DB2192
	v_perm_b32 v144, v147, v144, s55                           // 00000001BD1C: D1ED0090 00DF2193
	v_perm_b32 v145, v149, v148, s53                           // 00000001BD24: D1ED0091 00D72995
	v_perm_b32 v145, v150, v145, s54                           // 00000001BD2C: D1ED0091 00DB2396
	v_perm_b32 v145, v151, v145, s55                           // 00000001BD34: D1ED0091 00DF2397
	v_perm_b32 v146, v153, v152, s53                           // 00000001BD3C: D1ED0092 00D73199
	v_perm_b32 v146, v154, v146, s54                           // 00000001BD44: D1ED0092 00DB259A
	v_perm_b32 v146, v155, v146, s55                           // 00000001BD4C: D1ED0092 00DF259B
	v_perm_b32 v147, v157, v156, s53                           // 00000001BD54: D1ED0093 00D7399D
	v_perm_b32 v147, v158, v147, s54                           // 00000001BD5C: D1ED0093 00DB279E
	v_perm_b32 v147, v159, v147, s55                           // 00000001BD64: D1ED0093 00DF279F
	ds_write_b32 v10, v144 offset:33280                        // 00000001BD6C: D81A8200 0000900A
	ds_write_b32 v10, v145 offset:34304                        // 00000001BD74: D81A8600 0000910A
	ds_write_b32 v10, v146 offset:35328                        // 00000001BD7C: D81A8A00 0000920A
	ds_write_b32 v10, v147 offset:36352                        // 00000001BD84: D81A8E00 0000930A
	v_add_f32_e32 v224, v224, v192                             // 00000001BD8C: 03C181E0
	v_add_f32_e32 v225, v225, v193                             // 00000001BD90: 03C383E1
	v_add_f32_e32 v226, v226, v194                             // 00000001BD94: 03C585E2
	v_add_f32_e32 v227, v227, v195                             // 00000001BD98: 03C787E3
	v_add_f32_e32 v228, v228, v196                             // 00000001BD9C: 03C989E4
	v_add_f32_e32 v229, v229, v197                             // 00000001BDA0: 03CB8BE5
	v_add_f32_e32 v230, v230, v198                             // 00000001BDA4: 03CD8DE6
	v_add_f32_e32 v231, v231, v199                             // 00000001BDA8: 03CF8FE7
	v_rcp_f32_e32 v46, v48                                     // 00000001BDAC: 7E5C4530
	s_waitcnt lgkmcnt(0)                                       // 00000001BDB0: BF8CC07F
	s_barrier                                                  // 00000001BDB4: BF8A0000
	ds_read_b64 v[144:145], v9 offset:33280                    // 00000001BDB8: D8EC8200 90000009
	ds_read_b64 v[146:147], v9 offset:33408                    // 00000001BDC0: D8EC8280 92000009
	ds_read_b64 v[148:149], v9 offset:34304                    // 00000001BDC8: D8EC8600 94000009
	ds_read_b64 v[150:151], v9 offset:34432                    // 00000001BDD0: D8EC8680 96000009
	ds_read_b64 v[152:153], v9 offset:35328                    // 00000001BDD8: D8EC8A00 98000009
	ds_read_b64 v[154:155], v9 offset:35456                    // 00000001BDE0: D8EC8A80 9A000009
	ds_read_b64 v[156:157], v9 offset:36352                    // 00000001BDE8: D8EC8E00 9C000009
	ds_read_b64 v[158:159], v9 offset:36480                    // 00000001BDF0: D8EC8E80 9E000009
	s_waitcnt vmcnt(0)                                         // 00000001BDF8: BF8C0F70
	s_barrier                                                  // 00000001BDFC: BF8A0000
	v_mfma_i32_16x16x32_i8 v[176:179], a[64:65], v[112:113], 0 // 00000001BE00: D3D700B0 0A02E140
	v_mfma_i32_16x16x32_i8 v[176:179], a[66:67], v[114:115], v[176:179]// 00000001BE08: D3D700B0 0EC2E542
	v_mfma_i32_16x16x32_i8 v[176:179], a[68:69], v[116:117], v[176:179]// 00000001BE10: D3D700B0 0EC2E944
	v_mfma_i32_16x16x32_i8 v[176:179], a[70:71], v[118:119], v[176:179]// 00000001BE18: D3D700B0 0EC2ED46
	v_mfma_i32_16x16x32_i8 v[176:179], a[72:73], v[120:121], v[176:179]// 00000001BE20: D3D700B0 0EC2F148
	v_mfma_i32_16x16x32_i8 v[176:179], a[74:75], v[122:123], v[176:179]// 00000001BE28: D3D700B0 0EC2F54A
	v_mfma_i32_16x16x32_i8 v[176:179], a[76:77], v[124:125], v[176:179]// 00000001BE30: D3D700B0 0EC2F94C
	v_mfma_i32_16x16x32_i8 v[176:179], a[78:79], v[126:127], v[176:179]// 00000001BE38: D3D700B0 0EC2FD4E
	v_mfma_i32_16x16x32_i8 v[180:183], a[80:81], v[112:113], 0 // 00000001BE40: D3D700B4 0A02E150
	v_mfma_i32_16x16x32_i8 v[180:183], a[82:83], v[114:115], v[180:183]// 00000001BE48: D3D700B4 0ED2E552
	v_mfma_i32_16x16x32_i8 v[180:183], a[84:85], v[116:117], v[180:183]// 00000001BE50: D3D700B4 0ED2E954
	v_mfma_i32_16x16x32_i8 v[180:183], a[86:87], v[118:119], v[180:183]// 00000001BE58: D3D700B4 0ED2ED56
	v_mfma_i32_16x16x32_i8 v[180:183], a[88:89], v[120:121], v[180:183]// 00000001BE60: D3D700B4 0ED2F158
	v_mfma_i32_16x16x32_i8 v[180:183], a[90:91], v[122:123], v[180:183]// 00000001BE68: D3D700B4 0ED2F55A
	v_mfma_i32_16x16x32_i8 v[180:183], a[92:93], v[124:125], v[180:183]// 00000001BE70: D3D700B4 0ED2F95C
	v_mfma_i32_16x16x32_i8 v[180:183], a[94:95], v[126:127], v[180:183]// 00000001BE78: D3D700B4 0ED2FD5E
	v_mfma_i32_16x16x32_i8 v[184:187], a[64:65], v[128:129], 0 // 00000001BE80: D3D700B8 0A030140
	v_mfma_i32_16x16x32_i8 v[184:187], a[66:67], v[130:131], v[184:187]// 00000001BE88: D3D700B8 0EE30542
	v_mfma_i32_16x16x32_i8 v[184:187], a[68:69], v[132:133], v[184:187]// 00000001BE90: D3D700B8 0EE30944
	v_mfma_i32_16x16x32_i8 v[184:187], a[70:71], v[134:135], v[184:187]// 00000001BE98: D3D700B8 0EE30D46
	v_mfma_i32_16x16x32_i8 v[184:187], a[72:73], v[136:137], v[184:187]// 00000001BEA0: D3D700B8 0EE31148
	v_mfma_i32_16x16x32_i8 v[184:187], a[74:75], v[138:139], v[184:187]// 00000001BEA8: D3D700B8 0EE3154A
	v_mfma_i32_16x16x32_i8 v[184:187], a[76:77], v[140:141], v[184:187]// 00000001BEB0: D3D700B8 0EE3194C
	v_mfma_i32_16x16x32_i8 v[184:187], a[78:79], v[142:143], v[184:187]// 00000001BEB8: D3D700B8 0EE31D4E
	v_mfma_i32_16x16x32_i8 v[188:191], a[80:81], v[128:129], 0 // 00000001BEC0: D3D700BC 0A030150
	v_mfma_i32_16x16x32_i8 v[188:191], a[82:83], v[130:131], v[188:191]// 00000001BEC8: D3D700BC 0EF30552
	v_mfma_i32_16x16x32_i8 v[188:191], a[84:85], v[132:133], v[188:191]// 00000001BED0: D3D700BC 0EF30954
	v_mfma_i32_16x16x32_i8 v[188:191], a[86:87], v[134:135], v[188:191]// 00000001BED8: D3D700BC 0EF30D56
	v_mfma_i32_16x16x32_i8 v[188:191], a[88:89], v[136:137], v[188:191]// 00000001BEE0: D3D700BC 0EF31158
	v_mfma_i32_16x16x32_i8 v[188:191], a[90:91], v[138:139], v[188:191]// 00000001BEE8: D3D700BC 0EF3155A
	v_mfma_i32_16x16x32_i8 v[188:191], a[92:93], v[140:141], v[188:191]// 00000001BEF0: D3D700BC 0EF3195C
	v_mfma_i32_16x16x32_i8 v[188:191], a[94:95], v[142:143], v[188:191]// 00000001BEF8: D3D700BC 0EF31D5E
	v_mfma_i32_16x16x32_i8 v[192:195], a[64:65], v[144:145], 0 // 00000001BF00: D3D700C0 0A032140
	v_mfma_i32_16x16x32_i8 v[192:195], a[66:67], v[146:147], v[192:195]// 00000001BF08: D3D700C0 0F032542
	v_mfma_i32_16x16x32_i8 v[192:195], a[68:69], v[148:149], v[192:195]// 00000001BF10: D3D700C0 0F032944
	v_mfma_i32_16x16x32_i8 v[192:195], a[70:71], v[150:151], v[192:195]// 00000001BF18: D3D700C0 0F032D46
	v_mfma_i32_16x16x32_i8 v[192:195], a[72:73], v[152:153], v[192:195]// 00000001BF20: D3D700C0 0F033148
	v_mfma_i32_16x16x32_i8 v[192:195], a[74:75], v[154:155], v[192:195]// 00000001BF28: D3D700C0 0F03354A
	v_mfma_i32_16x16x32_i8 v[192:195], a[76:77], v[156:157], v[192:195]// 00000001BF30: D3D700C0 0F03394C
	v_mfma_i32_16x16x32_i8 v[192:195], a[78:79], v[158:159], v[192:195]// 00000001BF38: D3D700C0 0F033D4E
	v_mfma_i32_16x16x32_i8 v[196:199], a[80:81], v[144:145], 0 // 00000001BF40: D3D700C4 0A032150
	v_mfma_i32_16x16x32_i8 v[196:199], a[82:83], v[146:147], v[196:199]// 00000001BF48: D3D700C4 0F132552
	v_mfma_i32_16x16x32_i8 v[196:199], a[84:85], v[148:149], v[196:199]// 00000001BF50: D3D700C4 0F132954
	v_mfma_i32_16x16x32_i8 v[196:199], a[86:87], v[150:151], v[196:199]// 00000001BF58: D3D700C4 0F132D56
	v_mfma_i32_16x16x32_i8 v[196:199], a[88:89], v[152:153], v[196:199]// 00000001BF60: D3D700C4 0F133158
	v_mfma_i32_16x16x32_i8 v[196:199], a[90:91], v[154:155], v[196:199]// 00000001BF68: D3D700C4 0F13355A
	v_mfma_i32_16x16x32_i8 v[196:199], a[92:93], v[156:157], v[196:199]// 00000001BF70: D3D700C4 0F13395C
	v_mfma_i32_16x16x32_i8 v[196:199], a[94:95], v[158:159], v[196:199]// 00000001BF78: D3D700C4 0F133D5E
	s_nop 4                                                    // 00000001BF80: BF800004
	s_branch label_708A                                        // 00000001BF84: BF820928

000000000001bf88 <label_6762>:
	s_waitcnt vmcnt(8) lgkmcnt(0)                              // 00000001BF88: BF8C0078
	s_barrier                                                  // 00000001BF8C: BF8A0000
	v_mfma_i32_16x16x32_i8 v[112:115], a[32:33], v[80:81], 0   // 00000001BF90: D3D70070 0A02A120
	v_mfma_i32_16x16x32_i8 v[112:115], a[34:35], v[82:83], v[112:115]// 00000001BF98: D3D70070 0DC2A522
	v_mfma_i32_16x16x32_i8 v[112:115], a[36:37], v[84:85], v[112:115]// 00000001BFA0: D3D70070 0DC2A924
	v_mfma_i32_16x16x32_i8 v[112:115], a[38:39], v[86:87], v[112:115]// 00000001BFA8: D3D70070 0DC2AD26
	v_mfma_i32_16x16x32_i8 v[116:119], a[40:41], v[80:81], 0   // 00000001BFB0: D3D70074 0A02A128
	v_mfma_i32_16x16x32_i8 v[116:119], a[42:43], v[82:83], v[116:119]// 00000001BFB8: D3D70074 0DD2A52A
	v_mfma_i32_16x16x32_i8 v[116:119], a[44:45], v[84:85], v[116:119]// 00000001BFC0: D3D70074 0DD2A92C
	v_mfma_i32_16x16x32_i8 v[116:119], a[46:47], v[86:87], v[116:119]// 00000001BFC8: D3D70074 0DD2AD2E
	v_mfma_i32_16x16x32_i8 v[120:123], a[48:49], v[80:81], 0   // 00000001BFD0: D3D70078 0A02A130
	v_mfma_i32_16x16x32_i8 v[120:123], a[50:51], v[82:83], v[120:123]// 00000001BFD8: D3D70078 0DE2A532
	v_mfma_i32_16x16x32_i8 v[120:123], a[52:53], v[84:85], v[120:123]// 00000001BFE0: D3D70078 0DE2A934
	v_mfma_i32_16x16x32_i8 v[120:123], a[54:55], v[86:87], v[120:123]// 00000001BFE8: D3D70078 0DE2AD36
	v_mfma_i32_16x16x32_i8 v[124:127], a[56:57], v[80:81], 0   // 00000001BFF0: D3D7007C 0A02A138
	v_mfma_i32_16x16x32_i8 v[124:127], a[58:59], v[82:83], v[124:127]// 00000001BFF8: D3D7007C 0DF2A53A
	v_mfma_i32_16x16x32_i8 v[124:127], a[60:61], v[84:85], v[124:127]// 00000001C000: D3D7007C 0DF2A93C
	v_mfma_i32_16x16x32_i8 v[124:127], a[62:63], v[86:87], v[124:127]// 00000001C008: D3D7007C 0DF2AD3E
	v_mfma_i32_16x16x32_i8 v[128:131], a[32:33], v[88:89], 0   // 00000001C010: D3D70080 0A02B120
	v_mfma_i32_16x16x32_i8 v[128:131], a[34:35], v[90:91], v[128:131]// 00000001C018: D3D70080 0E02B522
	v_mfma_i32_16x16x32_i8 v[128:131], a[36:37], v[92:93], v[128:131]// 00000001C020: D3D70080 0E02B924
	v_mfma_i32_16x16x32_i8 v[128:131], a[38:39], v[94:95], v[128:131]// 00000001C028: D3D70080 0E02BD26
	v_mfma_i32_16x16x32_i8 v[132:135], a[40:41], v[88:89], 0   // 00000001C030: D3D70084 0A02B128
	v_mfma_i32_16x16x32_i8 v[132:135], a[42:43], v[90:91], v[132:135]// 00000001C038: D3D70084 0E12B52A
	v_mfma_i32_16x16x32_i8 v[132:135], a[44:45], v[92:93], v[132:135]// 00000001C040: D3D70084 0E12B92C
	v_mfma_i32_16x16x32_i8 v[132:135], a[46:47], v[94:95], v[132:135]// 00000001C048: D3D70084 0E12BD2E
	v_mfma_i32_16x16x32_i8 v[136:139], a[48:49], v[88:89], 0   // 00000001C050: D3D70088 0A02B130
	v_mfma_i32_16x16x32_i8 v[136:139], a[50:51], v[90:91], v[136:139]// 00000001C058: D3D70088 0E22B532
	v_mfma_i32_16x16x32_i8 v[136:139], a[52:53], v[92:93], v[136:139]// 00000001C060: D3D70088 0E22B934
	v_mfma_i32_16x16x32_i8 v[136:139], a[54:55], v[94:95], v[136:139]// 00000001C068: D3D70088 0E22BD36
	v_mfma_i32_16x16x32_i8 v[140:143], a[56:57], v[88:89], 0   // 00000001C070: D3D7008C 0A02B138
	v_mfma_i32_16x16x32_i8 v[140:143], a[58:59], v[90:91], v[140:143]// 00000001C078: D3D7008C 0E32B53A
	v_mfma_i32_16x16x32_i8 v[140:143], a[60:61], v[92:93], v[140:143]// 00000001C080: D3D7008C 0E32B93C
	v_mfma_i32_16x16x32_i8 v[140:143], a[62:63], v[94:95], v[140:143]// 00000001C088: D3D7008C 0E32BD3E
	v_mfma_i32_16x16x32_i8 v[144:147], a[32:33], v[96:97], 0   // 00000001C090: D3D70090 0A02C120
	v_mfma_i32_16x16x32_i8 v[144:147], a[34:35], v[98:99], v[144:147]// 00000001C098: D3D70090 0E42C522
	v_mfma_i32_16x16x32_i8 v[144:147], a[36:37], v[100:101], v[144:147]// 00000001C0A0: D3D70090 0E42C924
	v_mfma_i32_16x16x32_i8 v[144:147], a[38:39], v[102:103], v[144:147]// 00000001C0A8: D3D70090 0E42CD26
	v_mfma_i32_16x16x32_i8 v[148:151], a[40:41], v[96:97], 0   // 00000001C0B0: D3D70094 0A02C128
	v_mfma_i32_16x16x32_i8 v[148:151], a[42:43], v[98:99], v[148:151]// 00000001C0B8: D3D70094 0E52C52A
	v_mfma_i32_16x16x32_i8 v[148:151], a[44:45], v[100:101], v[148:151]// 00000001C0C0: D3D70094 0E52C92C
	v_mfma_i32_16x16x32_i8 v[148:151], a[46:47], v[102:103], v[148:151]// 00000001C0C8: D3D70094 0E52CD2E
	v_mfma_i32_16x16x32_i8 v[152:155], a[48:49], v[96:97], 0   // 00000001C0D0: D3D70098 0A02C130
	v_mfma_i32_16x16x32_i8 v[152:155], a[50:51], v[98:99], v[152:155]// 00000001C0D8: D3D70098 0E62C532
	v_mfma_i32_16x16x32_i8 v[152:155], a[52:53], v[100:101], v[152:155]// 00000001C0E0: D3D70098 0E62C934
	v_mfma_i32_16x16x32_i8 v[152:155], a[54:55], v[102:103], v[152:155]// 00000001C0E8: D3D70098 0E62CD36
	v_mfma_i32_16x16x32_i8 v[156:159], a[56:57], v[96:97], 0   // 00000001C0F0: D3D7009C 0A02C138
	v_mfma_i32_16x16x32_i8 v[156:159], a[58:59], v[98:99], v[156:159]// 00000001C0F8: D3D7009C 0E72C53A
	v_mfma_i32_16x16x32_i8 v[156:159], a[60:61], v[100:101], v[156:159]// 00000001C100: D3D7009C 0E72C93C
	v_mfma_i32_16x16x32_i8 v[156:159], a[62:63], v[102:103], v[156:159]// 00000001C108: D3D7009C 0E72CD3E
	v_mov_b32_dpp v64, v43 row_shr:4 row_mask:0xf bank_mask:0xf// 00000001C110: 7E8002FA FF01142B
	v_mov_b32_dpp v65, v43 row_shl:4 row_mask:0xf bank_mask:0xf// 00000001C118: 7E8202FA FF01042B
	v_cndmask_b32_e64 v248, v43, v64, s[44:45]                 // 00000001C120: D10000F8 00B2812B
	v_cndmask_b32_e64 v249, v65, v43, s[44:45]                 // 00000001C128: D10000F9 00B25741
	v_mov_b32_dpp v64, v248 row_shr:8 row_mask:0xf bank_mask:0xf// 00000001C130: 7E8002FA FF0118F8
	v_mov_b32_dpp v65, v248 row_shl:8 row_mask:0xf bank_mask:0xf// 00000001C138: 7E8202FA FF0108F8
	v_mov_b32_dpp v66, v249 row_shr:8 row_mask:0xf bank_mask:0xf// 00000001C140: 7E8402FA FF0118F9
	v_mov_b32_dpp v67, v249 row_shl:8 row_mask:0xf bank_mask:0xf// 00000001C148: 7E8602FA FF0108F9
	v_mov_b32_e32 v68, v248                                    // 00000001C150: 7E8803F8
	v_mov_b32_e32 v69, v249                                    // 00000001C154: 7E8A03F9
	v_cndmask_b32_e64 v248, v68, v64, s[42:43]                 // 00000001C158: D10000F8 00AA8144
	v_cndmask_b32_e64 v250, v68, v65, s[78:79]                 // 00000001C160: D10000FA 013A8344
	v_cndmask_b32_e64 v249, v69, v66, s[42:43]                 // 00000001C168: D10000F9 00AA8545
	v_cndmask_b32_e64 v251, v69, v67, s[78:79]                 // 00000001C170: D10000FB 013A8745
	v_mov_b32_dpp v64, v58 row_shr:4 row_mask:0xf bank_mask:0xf// 00000001C178: 7E8002FA FF01143A
	v_mov_b32_dpp v65, v58 row_shl:4 row_mask:0xf bank_mask:0xf// 00000001C180: 7E8202FA FF01043A
	v_cndmask_b32_e64 v252, v58, v64, s[44:45]                 // 00000001C188: D10000FC 00B2813A
	v_cndmask_b32_e64 v253, v65, v58, s[44:45]                 // 00000001C190: D10000FD 00B27541
	v_mov_b32_dpp v64, v252 row_shr:8 row_mask:0xf bank_mask:0xf// 00000001C198: 7E8002FA FF0118FC
	v_mov_b32_dpp v65, v252 row_shl:8 row_mask:0xf bank_mask:0xf// 00000001C1A0: 7E8202FA FF0108FC
	v_mov_b32_dpp v66, v253 row_shr:8 row_mask:0xf bank_mask:0xf// 00000001C1A8: 7E8402FA FF0118FD
	v_mov_b32_dpp v67, v253 row_shl:8 row_mask:0xf bank_mask:0xf// 00000001C1B0: 7E8602FA FF0108FD
	v_mov_b32_e32 v68, v252                                    // 00000001C1B8: 7E8803FC
	v_mov_b32_e32 v69, v253                                    // 00000001C1BC: 7E8A03FD
	v_cndmask_b32_e64 v252, v68, v64, s[42:43]                 // 00000001C1C0: D10000FC 00AA8144
	v_cndmask_b32_e64 v254, v68, v65, s[78:79]                 // 00000001C1C8: D10000FE 013A8344
	v_cndmask_b32_e64 v253, v69, v66, s[42:43]                 // 00000001C1D0: D10000FD 00AA8545
	v_cndmask_b32_e64 v255, v69, v67, s[78:79]                 // 00000001C1D8: D10000FF 013A8745
	v_cvt_f32_i32_e32 v112, v112                               // 00000001C1E0: 7EE00B70
	v_cvt_f32_i32_e32 v113, v113                               // 00000001C1E4: 7EE20B71
	v_cvt_f32_i32_e32 v114, v114                               // 00000001C1E8: 7EE40B72
	v_cvt_f32_i32_e32 v115, v115                               // 00000001C1EC: 7EE60B73
	v_cvt_f32_i32_e32 v116, v116                               // 00000001C1F0: 7EE80B74
	v_cvt_f32_i32_e32 v117, v117                               // 00000001C1F4: 7EEA0B75
	v_cvt_f32_i32_e32 v118, v118                               // 00000001C1F8: 7EEC0B76
	v_cvt_f32_i32_e32 v119, v119                               // 00000001C1FC: 7EEE0B77
	v_cvt_f32_i32_e32 v120, v120                               // 00000001C200: 7EF00B78
	v_cvt_f32_i32_e32 v121, v121                               // 00000001C204: 7EF20B79
	v_cvt_f32_i32_e32 v122, v122                               // 00000001C208: 7EF40B7A
	v_cvt_f32_i32_e32 v123, v123                               // 00000001C20C: 7EF60B7B
	v_cvt_f32_i32_e32 v124, v124                               // 00000001C210: 7EF80B7C
	v_cvt_f32_i32_e32 v125, v125                               // 00000001C214: 7EFA0B7D
	v_cvt_f32_i32_e32 v126, v126                               // 00000001C218: 7EFC0B7E
	v_cvt_f32_i32_e32 v127, v127                               // 00000001C21C: 7EFE0B7F
	v_mul_f32_e32 v112, v18, v112                              // 00000001C220: 0AE0E112
	v_mul_f32_e32 v113, v18, v113                              // 00000001C224: 0AE2E312
	v_mul_f32_e32 v114, v18, v114                              // 00000001C228: 0AE4E512
	v_mul_f32_e32 v115, v18, v115                              // 00000001C22C: 0AE6E712
	v_mul_f32_e32 v116, v18, v116                              // 00000001C230: 0AE8E912
	v_mul_f32_e32 v117, v18, v117                              // 00000001C234: 0AEAEB12
	v_mul_f32_e32 v118, v18, v118                              // 00000001C238: 0AECED12
	v_mul_f32_e32 v119, v18, v119                              // 00000001C23C: 0AEEEF12
	v_mul_f32_e32 v120, v18, v120                              // 00000001C240: 0AF0F112
	v_mul_f32_e32 v121, v18, v121                              // 00000001C244: 0AF2F312
	v_mul_f32_e32 v122, v18, v122                              // 00000001C248: 0AF4F512
	v_mul_f32_e32 v123, v18, v123                              // 00000001C24C: 0AF6F712
	v_mul_f32_e32 v124, v18, v124                              // 00000001C250: 0AF8F912
	v_mul_f32_e32 v125, v18, v125                              // 00000001C254: 0AFAFB12
	v_mul_f32_e32 v126, v18, v126                              // 00000001C258: 0AFCFD12
	v_mul_f32_e32 v127, v18, v127                              // 00000001C25C: 0AFEFF12
	v_mul_f32_dpp v112, v248, v112 quad_perm:[0,0,0,0] row_mask:0xf bank_mask:0xf// 00000001C260: 0AE0E0FA FF0000F8
	v_mul_f32_dpp v113, v248, v113 quad_perm:[1,1,1,1] row_mask:0xf bank_mask:0xf// 00000001C268: 0AE2E2FA FF0055F8
	v_mul_f32_dpp v114, v248, v114 quad_perm:[2,2,2,2] row_mask:0xf bank_mask:0xf// 00000001C270: 0AE4E4FA FF00AAF8
	v_mul_f32_dpp v115, v248, v115 quad_perm:[3,3,3,3] row_mask:0xf bank_mask:0xf// 00000001C278: 0AE6E6FA FF00FFF8
	v_mul_f32_dpp v116, v249, v116 quad_perm:[0,0,0,0] row_mask:0xf bank_mask:0xf// 00000001C280: 0AE8E8FA FF0000F9
	v_mul_f32_dpp v117, v249, v117 quad_perm:[1,1,1,1] row_mask:0xf bank_mask:0xf// 00000001C288: 0AEAEAFA FF0055F9
	v_mul_f32_dpp v118, v249, v118 quad_perm:[2,2,2,2] row_mask:0xf bank_mask:0xf// 00000001C290: 0AECECFA FF00AAF9
	v_mul_f32_dpp v119, v249, v119 quad_perm:[3,3,3,3] row_mask:0xf bank_mask:0xf// 00000001C298: 0AEEEEFA FF00FFF9
	v_mul_f32_dpp v120, v250, v120 quad_perm:[0,0,0,0] row_mask:0xf bank_mask:0xf// 00000001C2A0: 0AF0F0FA FF0000FA
	v_mul_f32_dpp v121, v250, v121 quad_perm:[1,1,1,1] row_mask:0xf bank_mask:0xf// 00000001C2A8: 0AF2F2FA FF0055FA
	v_mul_f32_dpp v122, v250, v122 quad_perm:[2,2,2,2] row_mask:0xf bank_mask:0xf// 00000001C2B0: 0AF4F4FA FF00AAFA
	v_mul_f32_dpp v123, v250, v123 quad_perm:[3,3,3,3] row_mask:0xf bank_mask:0xf// 00000001C2B8: 0AF6F6FA FF00FFFA
	v_mul_f32_dpp v124, v251, v124 quad_perm:[0,0,0,0] row_mask:0xf bank_mask:0xf// 00000001C2C0: 0AF8F8FA FF0000FB
	v_mul_f32_dpp v125, v251, v125 quad_perm:[1,1,1,1] row_mask:0xf bank_mask:0xf// 00000001C2C8: 0AFAFAFA FF0055FB
	v_mul_f32_dpp v126, v251, v126 quad_perm:[2,2,2,2] row_mask:0xf bank_mask:0xf// 00000001C2D0: 0AFCFCFA FF00AAFB
	v_mul_f32_dpp v127, v251, v127 quad_perm:[3,3,3,3] row_mask:0xf bank_mask:0xf// 00000001C2D8: 0AFEFEFA FF00FFFB
	s_cmp_le_i32 s90, s89                                      // 00000001C2E0: BF05595A
	s_cbranch_scc1 label_68AB                                  // 00000001C2E4: BF850071
	v_mov_b32_e32 v66, 0xff800000                              // 00000001C2E8: 7E8402FF FF800000
	s_mov_b32 s60, s90                                         // 00000001C2F0: BEBC005A
	s_add_u32 s61, s89, 0xff                                   // 00000001C2F4: 803DFF59 000000FF
	v_mov_b32_e32 v64, s61                                     // 00000001C2FC: 7E80023D
	v_lshrrev_b32_e32 v240, 4, v0                              // 00000001C300: 21E00084
	v_mul_i32_i24_e32 v240, 4, v240                            // 00000001C304: 0DE1E084
	v_add_u32_e32 v240, s60, v240                              // 00000001C308: 69E1E03C
	s_mov_b32 s61, 0                                           // 00000001C30C: BEBD0080
	s_mul_i32 s60, 16, s7                                      // 00000001C310: 923C0790
	v_sub_u32_e64 v240, v240, s61                              // 00000001C314: D13500F0 00007BF0
	v_add_u32_e32 v240, s60, v240                              // 00000001C31C: 69E1E03C
	v_add_u32_e32 v241, 1, v240                                // 00000001C320: 69E3E081
	v_add_u32_e32 v242, 2, v240                                // 00000001C324: 69E5E082
	v_add_u32_e32 v243, 3, v240                                // 00000001C328: 69E7E083
	v_cmp_le_u32_e64 s[40:41], v240, v64                       // 00000001C32C: D0CB0028 000281F0
	v_add_u32_e32 v240, 64, v240                               // 00000001C334: 69E1E0C0
	s_nop 0                                                    // 00000001C338: BF800000
	v_cndmask_b32_e64 v112, v66, v112, s[40:41]                // 00000001C33C: D1000070 00A2E142
	v_cmp_le_u32_e64 s[40:41], v241, v64                       // 00000001C344: D0CB0028 000281F1
	v_add_u32_e32 v241, 64, v241                               // 00000001C34C: 69E3E2C0
	s_nop 0                                                    // 00000001C350: BF800000
	v_cndmask_b32_e64 v113, v66, v113, s[40:41]                // 00000001C354: D1000071 00A2E342
	v_cmp_le_u32_e64 s[40:41], v242, v64                       // 00000001C35C: D0CB0028 000281F2
	v_add_u32_e32 v242, 64, v242                               // 00000001C364: 69E5E4C0
	s_nop 0                                                    // 00000001C368: BF800000
	v_cndmask_b32_e64 v114, v66, v114, s[40:41]                // 00000001C36C: D1000072 00A2E542
	v_cmp_le_u32_e64 s[40:41], v243, v64                       // 00000001C374: D0CB0028 000281F3
	v_add_u32_e32 v243, 64, v243                               // 00000001C37C: 69E7E6C0
	s_nop 0                                                    // 00000001C380: BF800000
	v_cndmask_b32_e64 v115, v66, v115, s[40:41]                // 00000001C384: D1000073 00A2E742
	v_cmp_le_u32_e64 s[40:41], v240, v64                       // 00000001C38C: D0CB0028 000281F0
	v_add_u32_e32 v240, 64, v240                               // 00000001C394: 69E1E0C0
	s_nop 0                                                    // 00000001C398: BF800000
	v_cndmask_b32_e64 v116, v66, v116, s[40:41]                // 00000001C39C: D1000074 00A2E942
	v_cmp_le_u32_e64 s[40:41], v241, v64                       // 00000001C3A4: D0CB0028 000281F1
	v_add_u32_e32 v241, 64, v241                               // 00000001C3AC: 69E3E2C0
	s_nop 0                                                    // 00000001C3B0: BF800000
	v_cndmask_b32_e64 v117, v66, v117, s[40:41]                // 00000001C3B4: D1000075 00A2EB42
	v_cmp_le_u32_e64 s[40:41], v242, v64                       // 00000001C3BC: D0CB0028 000281F2
	v_add_u32_e32 v242, 64, v242                               // 00000001C3C4: 69E5E4C0
	s_nop 0                                                    // 00000001C3C8: BF800000
	v_cndmask_b32_e64 v118, v66, v118, s[40:41]                // 00000001C3CC: D1000076 00A2ED42
	v_cmp_le_u32_e64 s[40:41], v243, v64                       // 00000001C3D4: D0CB0028 000281F3
	v_add_u32_e32 v243, 64, v243                               // 00000001C3DC: 69E7E6C0
	s_nop 0                                                    // 00000001C3E0: BF800000
	v_cndmask_b32_e64 v119, v66, v119, s[40:41]                // 00000001C3E4: D1000077 00A2EF42
	v_cmp_le_u32_e64 s[40:41], v240, v64                       // 00000001C3EC: D0CB0028 000281F0
	v_add_u32_e32 v240, 64, v240                               // 00000001C3F4: 69E1E0C0
	s_nop 0                                                    // 00000001C3F8: BF800000
	v_cndmask_b32_e64 v120, v66, v120, s[40:41]                // 00000001C3FC: D1000078 00A2F142
	v_cmp_le_u32_e64 s[40:41], v241, v64                       // 00000001C404: D0CB0028 000281F1
	v_add_u32_e32 v241, 64, v241                               // 00000001C40C: 69E3E2C0
	s_nop 0                                                    // 00000001C410: BF800000
	v_cndmask_b32_e64 v121, v66, v121, s[40:41]                // 00000001C414: D1000079 00A2F342
	v_cmp_le_u32_e64 s[40:41], v242, v64                       // 00000001C41C: D0CB0028 000281F2
	v_add_u32_e32 v242, 64, v242                               // 00000001C424: 69E5E4C0
	s_nop 0                                                    // 00000001C428: BF800000
	v_cndmask_b32_e64 v122, v66, v122, s[40:41]                // 00000001C42C: D100007A 00A2F542
	v_cmp_le_u32_e64 s[40:41], v243, v64                       // 00000001C434: D0CB0028 000281F3
	v_add_u32_e32 v243, 64, v243                               // 00000001C43C: 69E7E6C0
	s_nop 0                                                    // 00000001C440: BF800000
	v_cndmask_b32_e64 v123, v66, v123, s[40:41]                // 00000001C444: D100007B 00A2F742
	v_cmp_le_u32_e64 s[40:41], v240, v64                       // 00000001C44C: D0CB0028 000281F0
	v_add_u32_e32 v240, 64, v240                               // 00000001C454: 69E1E0C0
	s_nop 0                                                    // 00000001C458: BF800000
	v_cndmask_b32_e64 v124, v66, v124, s[40:41]                // 00000001C45C: D100007C 00A2F942
	v_cmp_le_u32_e64 s[40:41], v241, v64                       // 00000001C464: D0CB0028 000281F1
	v_add_u32_e32 v241, 64, v241                               // 00000001C46C: 69E3E2C0
	s_nop 0                                                    // 00000001C470: BF800000
	v_cndmask_b32_e64 v125, v66, v125, s[40:41]                // 00000001C474: D100007D 00A2FB42
	v_cmp_le_u32_e64 s[40:41], v242, v64                       // 00000001C47C: D0CB0028 000281F2
	v_add_u32_e32 v242, 64, v242                               // 00000001C484: 69E5E4C0
	s_nop 0                                                    // 00000001C488: BF800000
	v_cndmask_b32_e64 v126, v66, v126, s[40:41]                // 00000001C48C: D100007E 00A2FD42
	v_cmp_le_u32_e64 s[40:41], v243, v64                       // 00000001C494: D0CB0028 000281F3
	v_add_u32_e32 v243, 64, v243                               // 00000001C49C: 69E7E6C0
	s_nop 0                                                    // 00000001C4A0: BF800000
	v_cndmask_b32_e64 v127, v66, v127, s[40:41]                // 00000001C4A4: D100007F 00A2FF42

000000000001c4ac <label_68AB>:
	s_and_b32 s60, s72, 0xff                                   // 00000001C4AC: 863CFF48 000000FF
	v_mov_b32_e32 v65, s60                                     // 00000001C4B4: 7E82023C
	v_lshrrev_b32_e32 v240, 4, v0                              // 00000001C4B8: 21E00084
	v_mul_i32_i24_e32 v240, 4, v240                            // 00000001C4BC: 0DE1E084
	s_mul_i32 s60, s7, 16                                      // 00000001C4C0: 923C9007
	v_add_u32_e32 v240, s60, v240                              // 00000001C4C4: 69E1E03C
	v_add_u32_e32 v241, 1, v240                                // 00000001C4C8: 69E3E081
	v_add_u32_e32 v242, 2, v240                                // 00000001C4CC: 69E5E082
	v_add_u32_e32 v243, 3, v240                                // 00000001C4D0: 69E7E083
	v_mov_b32_e32 v64, 0xff800000                              // 00000001C4D4: 7E8002FF FF800000
	v_cmp_lt_u32_e64 s[40:41], v240, v65                       // 00000001C4DC: D0C90028 000283F0
	v_add_u32_e32 v240, 64, v240                               // 00000001C4E4: 69E1E0C0
	s_nop 0                                                    // 00000001C4E8: BF800000
	v_cndmask_b32_e64 v112, v64, v112, s[40:41]                // 00000001C4EC: D1000070 00A2E140
	v_cmp_lt_u32_e64 s[40:41], v241, v65                       // 00000001C4F4: D0C90028 000283F1
	v_add_u32_e32 v241, 64, v241                               // 00000001C4FC: 69E3E2C0
	s_nop 0                                                    // 00000001C500: BF800000
	v_cndmask_b32_e64 v113, v64, v113, s[40:41]                // 00000001C504: D1000071 00A2E340
	v_cmp_lt_u32_e64 s[40:41], v242, v65                       // 00000001C50C: D0C90028 000283F2
	v_add_u32_e32 v242, 64, v242                               // 00000001C514: 69E5E4C0
	s_nop 0                                                    // 00000001C518: BF800000
	v_cndmask_b32_e64 v114, v64, v114, s[40:41]                // 00000001C51C: D1000072 00A2E540
	v_cmp_lt_u32_e64 s[40:41], v243, v65                       // 00000001C524: D0C90028 000283F3
	v_add_u32_e32 v243, 64, v243                               // 00000001C52C: 69E7E6C0
	s_nop 0                                                    // 00000001C530: BF800000
	v_cndmask_b32_e64 v115, v64, v115, s[40:41]                // 00000001C534: D1000073 00A2E740
	v_cmp_lt_u32_e64 s[40:41], v240, v65                       // 00000001C53C: D0C90028 000283F0
	v_add_u32_e32 v240, 64, v240                               // 00000001C544: 69E1E0C0
	s_nop 0                                                    // 00000001C548: BF800000
	v_cndmask_b32_e64 v116, v64, v116, s[40:41]                // 00000001C54C: D1000074 00A2E940
	v_cmp_lt_u32_e64 s[40:41], v241, v65                       // 00000001C554: D0C90028 000283F1
	v_add_u32_e32 v241, 64, v241                               // 00000001C55C: 69E3E2C0
	s_nop 0                                                    // 00000001C560: BF800000
	v_cndmask_b32_e64 v117, v64, v117, s[40:41]                // 00000001C564: D1000075 00A2EB40
	v_cmp_lt_u32_e64 s[40:41], v242, v65                       // 00000001C56C: D0C90028 000283F2
	v_add_u32_e32 v242, 64, v242                               // 00000001C574: 69E5E4C0
	s_nop 0                                                    // 00000001C578: BF800000
	v_cndmask_b32_e64 v118, v64, v118, s[40:41]                // 00000001C57C: D1000076 00A2ED40
	v_cmp_lt_u32_e64 s[40:41], v243, v65                       // 00000001C584: D0C90028 000283F3
	v_add_u32_e32 v243, 64, v243                               // 00000001C58C: 69E7E6C0
	s_nop 0                                                    // 00000001C590: BF800000
	v_cndmask_b32_e64 v119, v64, v119, s[40:41]                // 00000001C594: D1000077 00A2EF40
	v_cmp_lt_u32_e64 s[40:41], v240, v65                       // 00000001C59C: D0C90028 000283F0
	v_add_u32_e32 v240, 64, v240                               // 00000001C5A4: 69E1E0C0
	s_nop 0                                                    // 00000001C5A8: BF800000
	v_cndmask_b32_e64 v120, v64, v120, s[40:41]                // 00000001C5AC: D1000078 00A2F140
	v_cmp_lt_u32_e64 s[40:41], v241, v65                       // 00000001C5B4: D0C90028 000283F1
	v_add_u32_e32 v241, 64, v241                               // 00000001C5BC: 69E3E2C0
	s_nop 0                                                    // 00000001C5C0: BF800000
	v_cndmask_b32_e64 v121, v64, v121, s[40:41]                // 00000001C5C4: D1000079 00A2F340
	v_cmp_lt_u32_e64 s[40:41], v242, v65                       // 00000001C5CC: D0C90028 000283F2
	v_add_u32_e32 v242, 64, v242                               // 00000001C5D4: 69E5E4C0
	s_nop 0                                                    // 00000001C5D8: BF800000
	v_cndmask_b32_e64 v122, v64, v122, s[40:41]                // 00000001C5DC: D100007A 00A2F540
	v_cmp_lt_u32_e64 s[40:41], v243, v65                       // 00000001C5E4: D0C90028 000283F3
	v_add_u32_e32 v243, 64, v243                               // 00000001C5EC: 69E7E6C0
	s_nop 0                                                    // 00000001C5F0: BF800000
	v_cndmask_b32_e64 v123, v64, v123, s[40:41]                // 00000001C5F4: D100007B 00A2F740
	v_cmp_lt_u32_e64 s[40:41], v240, v65                       // 00000001C5FC: D0C90028 000283F0
	v_add_u32_e32 v240, 64, v240                               // 00000001C604: 69E1E0C0
	s_nop 0                                                    // 00000001C608: BF800000
	v_cndmask_b32_e64 v124, v64, v124, s[40:41]                // 00000001C60C: D100007C 00A2F940
	v_cmp_lt_u32_e64 s[40:41], v241, v65                       // 00000001C614: D0C90028 000283F1
	v_add_u32_e32 v241, 64, v241                               // 00000001C61C: 69E3E2C0
	s_nop 0                                                    // 00000001C620: BF800000
	v_cndmask_b32_e64 v125, v64, v125, s[40:41]                // 00000001C624: D100007D 00A2FB40
	v_cmp_lt_u32_e64 s[40:41], v242, v65                       // 00000001C62C: D0C90028 000283F2
	v_add_u32_e32 v242, 64, v242                               // 00000001C634: 69E5E4C0
	s_nop 0                                                    // 00000001C638: BF800000
	v_cndmask_b32_e64 v126, v64, v126, s[40:41]                // 00000001C63C: D100007E 00A2FD40
	v_cmp_lt_u32_e64 s[40:41], v243, v65                       // 00000001C644: D0C90028 000283F3
	v_add_u32_e32 v243, 64, v243                               // 00000001C64C: 69E7E6C0
	s_nop 0                                                    // 00000001C650: BF800000
	v_cndmask_b32_e64 v127, v64, v127, s[40:41]                // 00000001C654: D100007F 00A2FF40
	v_mov_b32_e32 v48, v112                                    // 00000001C65C: 7E600370
	v_max3_f32 v48, v112, v113, v48                            // 00000001C660: D1D30030 04C2E370
	v_max3_f32 v48, v114, v115, v48                            // 00000001C668: D1D30030 04C2E772
	v_max3_f32 v48, v116, v117, v48                            // 00000001C670: D1D30030 04C2EB74
	v_max3_f32 v48, v118, v119, v48                            // 00000001C678: D1D30030 04C2EF76
	v_max3_f32 v48, v120, v121, v48                            // 00000001C680: D1D30030 04C2F378
	v_max3_f32 v48, v122, v123, v48                            // 00000001C688: D1D30030 04C2F77A
	v_max3_f32 v48, v124, v125, v48                            // 00000001C690: D1D30030 04C2FB7C
	v_max3_f32 v48, v126, v127, v48                            // 00000001C698: D1D30030 04C2FF7E
	ds_write_b32 v8, v48 offset:16896                          // 00000001C6A0: D81A4200 00003008
	v_mul_u32_u24_dpp v64, v16, v54 row_newbcast:1 row_mask:0xf bank_mask:0xf// 00000001C6A8: 10806CFA FF015110
	v_mul_u32_u24_dpp v65, v16, v54 row_newbcast:5 row_mask:0xf bank_mask:0xf// 00000001C6B0: 10826CFA FF015510
	v_mul_u32_u24_dpp v66, v16, v54 row_newbcast:9 row_mask:0xf bank_mask:0xf// 00000001C6B8: 10846CFA FF015910
	v_mul_u32_u24_dpp v67, v16, v54 row_newbcast:13 row_mask:0xf bank_mask:0xf// 00000001C6C0: 10866CFA FF015D10
	v_add_u32_e32 v30, v64, v6                                 // 00000001C6C8: 683C0D40
	v_add_u32_e32 v31, v65, v6                                 // 00000001C6CC: 683E0D41
	v_add_u32_e32 v32, v66, v6                                 // 00000001C6D0: 68400D42
	v_add_u32_e32 v33, v67, v6                                 // 00000001C6D4: 68420D43
	v_mul_f32_e32 v208, v49, v208                              // 00000001C6D8: 0BA1A131
	v_mul_f32_e32 v209, v49, v209                              // 00000001C6DC: 0BA3A331
	v_mul_f32_e32 v210, v49, v210                              // 00000001C6E0: 0BA5A531
	v_mul_f32_e32 v211, v49, v211                              // 00000001C6E4: 0BA7A731
	v_mul_f32_e32 v212, v49, v212                              // 00000001C6E8: 0BA9A931
	v_mul_f32_e32 v213, v49, v213                              // 00000001C6EC: 0BABAB31
	v_mul_f32_e32 v214, v49, v214                              // 00000001C6F0: 0BADAD31
	v_mul_f32_e32 v215, v49, v215                              // 00000001C6F4: 0BAFAF31
	s_waitcnt lgkmcnt(0)                                       // 00000001C6F8: BF8CC07F
	s_barrier                                                  // 00000001C6FC: BF8A0000
	ds_read_b32 v64, v7 offset:16896                           // 00000001C700: D86C4200 40000007
	ds_read_b32 v65, v7 offset:16960                           // 00000001C708: D86C4240 41000007
	ds_read_b32 v66, v7 offset:17024                           // 00000001C710: D86C4280 42000007
	ds_read_b32 v67, v7 offset:17088                           // 00000001C718: D86C42C0 43000007
	ds_read_b32 v68, v7 offset:17152                           // 00000001C720: D86C4300 44000007
	ds_read_b32 v69, v7 offset:17216                           // 00000001C728: D86C4340 45000007
	ds_read_b32 v70, v7 offset:17280                           // 00000001C730: D86C4380 46000007
	ds_read_b32 v71, v7 offset:17344                           // 00000001C738: D86C43C0 47000007
	ds_read_b32 v72, v7 offset:17408                           // 00000001C740: D86C4400 48000007
	ds_read_b32 v73, v7 offset:17472                           // 00000001C748: D86C4440 49000007
	ds_read_b32 v74, v7 offset:17536                           // 00000001C750: D86C4480 4A000007
	ds_read_b32 v75, v7 offset:17600                           // 00000001C758: D86C44C0 4B000007
	ds_read_b32 v76, v7 offset:17664                           // 00000001C760: D86C4500 4C000007
	ds_read_b32 v77, v7 offset:17728                           // 00000001C768: D86C4540 4D000007
	ds_read_b32 v78, v7 offset:17792                           // 00000001C770: D86C4580 4E000007
	ds_read_b32 v79, v7 offset:17856                           // 00000001C778: D86C45C0 4F000007
	v_cvt_f32_i32_e32 v176, v176                               // 00000001C780: 7F600BB0
	v_cvt_f32_i32_e32 v177, v177                               // 00000001C784: 7F620BB1
	v_cvt_f32_i32_e32 v178, v178                               // 00000001C788: 7F640BB2
	v_cvt_f32_i32_e32 v179, v179                               // 00000001C78C: 7F660BB3
	v_cvt_f32_i32_e32 v180, v180                               // 00000001C790: 7F680BB4
	v_cvt_f32_i32_e32 v181, v181                               // 00000001C794: 7F6A0BB5
	v_cvt_f32_i32_e32 v182, v182                               // 00000001C798: 7F6C0BB6
	v_cvt_f32_i32_e32 v183, v183                               // 00000001C79C: 7F6E0BB7
	v_mul_f32_e32 v176, v44, v176                              // 00000001C7A0: 0B61612C
	v_mul_f32_e32 v177, v44, v177                              // 00000001C7A4: 0B63632C
	v_mul_f32_e32 v178, v44, v178                              // 00000001C7A8: 0B65652C
	v_mul_f32_e32 v179, v44, v179                              // 00000001C7AC: 0B67672C
	v_mul_f32_e32 v180, v44, v180                              // 00000001C7B0: 0B69692C
	v_mul_f32_e32 v181, v44, v181                              // 00000001C7B4: 0B6B6B2C
	v_mul_f32_e32 v182, v44, v182                              // 00000001C7B8: 0B6D6D2C
	v_mul_f32_e32 v183, v44, v183                              // 00000001C7BC: 0B6F6F2C
	s_waitcnt lgkmcnt(0)                                       // 00000001C7C0: BF8CC07F
	v_max3_f32 v48, v64, v65, v48                              // 00000001C7C4: D1D30030 04C28340
	v_max3_f32 v48, v66, v67, v48                              // 00000001C7CC: D1D30030 04C28742
	v_max3_f32 v48, v68, v69, v48                              // 00000001C7D4: D1D30030 04C28B44
	v_max3_f32 v48, v70, v71, v48                              // 00000001C7DC: D1D30030 04C28F46
	v_max3_f32 v48, v72, v73, v48                              // 00000001C7E4: D1D30030 04C29348
	v_max3_f32 v48, v74, v75, v48                              // 00000001C7EC: D1D30030 04C2974A
	v_max3_f32 v48, v76, v77, v48                              // 00000001C7F4: D1D30030 04C29B4C
	v_max3_f32 v48, v78, v79, v48                              // 00000001C7FC: D1D30030 04C29F4E
	v_mov_b32_e32 v64, 0xff800000                              // 00000001C804: 7E8002FF FF800000
	v_cmp_eq_u32_e64 s[40:41], v64, v11                        // 00000001C80C: D0CA0028 00021740
	s_nop 1                                                    // 00000001C814: BF800001
	v_max_f32_e32 v15, v48, v11                                // 00000001C818: 161E1730
	v_mul_f32_e32 v53, s64, v15                                // 00000001C81C: 0A6A1E40
	v_fma_f32 v112, v112, s64, -v53                            // 00000001C820: D1CB0070 84D48170
	v_fma_f32 v113, v113, s64, -v53                            // 00000001C828: D1CB0071 84D48171
	v_fma_f32 v114, v114, s64, -v53                            // 00000001C830: D1CB0072 84D48172
	v_fma_f32 v115, v115, s64, -v53                            // 00000001C838: D1CB0073 84D48173
	v_fma_f32 v116, v116, s64, -v53                            // 00000001C840: D1CB0074 84D48174
	v_fma_f32 v117, v117, s64, -v53                            // 00000001C848: D1CB0075 84D48175
	v_fma_f32 v118, v118, s64, -v53                            // 00000001C850: D1CB0076 84D48176
	v_fma_f32 v119, v119, s64, -v53                            // 00000001C858: D1CB0077 84D48177
	v_fma_f32 v120, v120, s64, -v53                            // 00000001C860: D1CB0078 84D48178
	v_fma_f32 v121, v121, s64, -v53                            // 00000001C868: D1CB0079 84D48179
	v_fma_f32 v122, v122, s64, -v53                            // 00000001C870: D1CB007A 84D4817A
	v_fma_f32 v123, v123, s64, -v53                            // 00000001C878: D1CB007B 84D4817B
	v_fma_f32 v124, v124, s64, -v53                            // 00000001C880: D1CB007C 84D4817C
	v_fma_f32 v125, v125, s64, -v53                            // 00000001C888: D1CB007D 84D4817D
	v_fma_f32 v126, v126, s64, -v53                            // 00000001C890: D1CB007E 84D4817E
	v_fma_f32 v127, v127, s64, -v53                            // 00000001C898: D1CB007F 84D4817F
	v_exp_f32_e32 v112, v112                                   // 00000001C8A0: 7EE04170
	v_exp_f32_e32 v113, v113                                   // 00000001C8A4: 7EE24171
	v_exp_f32_e32 v114, v114                                   // 00000001C8A8: 7EE44172
	v_exp_f32_e32 v115, v115                                   // 00000001C8AC: 7EE64173
	v_exp_f32_e32 v116, v116                                   // 00000001C8B0: 7EE84174
	v_exp_f32_e32 v117, v117                                   // 00000001C8B4: 7EEA4175
	v_exp_f32_e32 v118, v118                                   // 00000001C8B8: 7EEC4176
	v_exp_f32_e32 v119, v119                                   // 00000001C8BC: 7EEE4177
	v_exp_f32_e32 v120, v120                                   // 00000001C8C0: 7EF04178
	v_exp_f32_e32 v121, v121                                   // 00000001C8C4: 7EF24179
	v_exp_f32_e32 v122, v122                                   // 00000001C8C8: 7EF4417A
	v_exp_f32_e32 v123, v123                                   // 00000001C8CC: 7EF6417B
	v_exp_f32_e32 v124, v124                                   // 00000001C8D0: 7EF8417C
	v_exp_f32_e32 v125, v125                                   // 00000001C8D4: 7EFA417D
	v_exp_f32_e32 v126, v126                                   // 00000001C8D8: 7EFC417E
	v_exp_f32_e32 v127, v127                                   // 00000001C8DC: 7EFE417F
	v_mul_f32_dpp v240, v252, v112 quad_perm:[0,0,0,0] row_mask:0xf bank_mask:0xf// 00000001C8E0: 0BE0E0FA FF0000FC
	v_mul_f32_dpp v241, v252, v113 quad_perm:[1,1,1,1] row_mask:0xf bank_mask:0xf// 00000001C8E8: 0BE2E2FA FF0055FC
	v_mul_f32_dpp v242, v252, v114 quad_perm:[2,2,2,2] row_mask:0xf bank_mask:0xf// 00000001C8F0: 0BE4E4FA FF00AAFC
	v_mul_f32_dpp v243, v252, v115 quad_perm:[3,3,3,3] row_mask:0xf bank_mask:0xf// 00000001C8F8: 0BE6E6FA FF00FFFC
	v_mul_f32_dpp v244, v253, v116 quad_perm:[0,0,0,0] row_mask:0xf bank_mask:0xf// 00000001C900: 0BE8E8FA FF0000FD
	v_mul_f32_dpp v245, v253, v117 quad_perm:[1,1,1,1] row_mask:0xf bank_mask:0xf// 00000001C908: 0BEAEAFA FF0055FD
	v_mul_f32_dpp v246, v253, v118 quad_perm:[2,2,2,2] row_mask:0xf bank_mask:0xf// 00000001C910: 0BECECFA FF00AAFD
	v_mul_f32_dpp v247, v253, v119 quad_perm:[3,3,3,3] row_mask:0xf bank_mask:0xf// 00000001C918: 0BEEEEFA FF00FFFD
	v_mul_f32_dpp v248, v254, v120 quad_perm:[0,0,0,0] row_mask:0xf bank_mask:0xf// 00000001C920: 0BF0F0FA FF0000FE
	v_mul_f32_dpp v249, v254, v121 quad_perm:[1,1,1,1] row_mask:0xf bank_mask:0xf// 00000001C928: 0BF2F2FA FF0055FE
	v_mul_f32_dpp v250, v254, v122 quad_perm:[2,2,2,2] row_mask:0xf bank_mask:0xf// 00000001C930: 0BF4F4FA FF00AAFE
	v_mul_f32_dpp v251, v254, v123 quad_perm:[3,3,3,3] row_mask:0xf bank_mask:0xf// 00000001C938: 0BF6F6FA FF00FFFE
	v_mul_f32_dpp v252, v255, v124 quad_perm:[0,0,0,0] row_mask:0xf bank_mask:0xf// 00000001C940: 0BF8F8FA FF0000FF
	v_mul_f32_dpp v253, v255, v125 quad_perm:[1,1,1,1] row_mask:0xf bank_mask:0xf// 00000001C948: 0BFAFAFA FF0055FF
	v_mul_f32_dpp v254, v255, v126 quad_perm:[2,2,2,2] row_mask:0xf bank_mask:0xf// 00000001C950: 0BFCFCFA FF00AAFF
	v_mul_f32_dpp v255, v255, v127 quad_perm:[3,3,3,3] row_mask:0xf bank_mask:0xf// 00000001C958: 0BFEFEFA FF00FFFF
	v_mov_b32_e32 v48, 0x358637bd                              // 00000001C960: 7E6002FF 358637BD
	v_max3_f32 v48, |v240|, |v241|, v48                        // 00000001C968: D1D30330 04C3E3F0
	v_max3_f32 v48, |v242|, |v243|, v48                        // 00000001C970: D1D30330 04C3E7F2
	v_max3_f32 v48, |v244|, |v245|, v48                        // 00000001C978: D1D30330 04C3EBF4
	v_max3_f32 v48, |v246|, |v247|, v48                        // 00000001C980: D1D30330 04C3EFF6
	v_max3_f32 v48, |v248|, |v249|, v48                        // 00000001C988: D1D30330 04C3F3F8
	v_max3_f32 v48, |v250|, |v251|, v48                        // 00000001C990: D1D30330 04C3F7FA
	v_max3_f32 v48, |v252|, |v253|, v48                        // 00000001C998: D1D30330 04C3FBFC
	v_max3_f32 v48, |v254|, |v255|, v48                        // 00000001C9A0: D1D30330 04C3FFFE
	ds_write_b32 v8, v48 offset:20992                          // 00000001C9A8: D81A5200 00003008
	v_sub_f32_e32 v49, v11, v15                                // 00000001C9B0: 04621F0B
	v_cndmask_b32_e64 v49, v49, 0, s[40:41]                    // 00000001C9B4: D1000031 00A10131
	v_mov_b32_e32 v11, v15                                     // 00000001C9BC: 7E16030F
	v_mul_f32_e32 v49, s64, v49                                // 00000001C9C0: 0A626240
	v_exp_f32_e32 v49, v49                                     // 00000001C9C4: 7E624131
	s_waitcnt lgkmcnt(0)                                       // 00000001C9C8: BF8CC07F
	s_barrier                                                  // 00000001C9CC: BF8A0000
	ds_read_b32 v64, v7 offset:20992                           // 00000001C9D0: D86C5200 40000007
	ds_read_b32 v65, v7 offset:21056                           // 00000001C9D8: D86C5240 41000007
	ds_read_b32 v66, v7 offset:21120                           // 00000001C9E0: D86C5280 42000007
	ds_read_b32 v67, v7 offset:21184                           // 00000001C9E8: D86C52C0 43000007
	ds_read_b32 v68, v7 offset:21248                           // 00000001C9F0: D86C5300 44000007
	ds_read_b32 v69, v7 offset:21312                           // 00000001C9F8: D86C5340 45000007
	ds_read_b32 v70, v7 offset:21376                           // 00000001CA00: D86C5380 46000007
	ds_read_b32 v71, v7 offset:21440                           // 00000001CA08: D86C53C0 47000007
	ds_read_b32 v72, v7 offset:21504                           // 00000001CA10: D86C5400 48000007
	ds_read_b32 v73, v7 offset:21568                           // 00000001CA18: D86C5440 49000007
	ds_read_b32 v74, v7 offset:21632                           // 00000001CA20: D86C5480 4A000007
	ds_read_b32 v75, v7 offset:21696                           // 00000001CA28: D86C54C0 4B000007
	ds_read_b32 v76, v7 offset:21760                           // 00000001CA30: D86C5500 4C000007
	ds_read_b32 v77, v7 offset:21824                           // 00000001CA38: D86C5540 4D000007
	ds_read_b32 v78, v7 offset:21888                           // 00000001CA40: D86C5580 4E000007
	ds_read_b32 v79, v7 offset:21952                           // 00000001CA48: D86C55C0 4F000007
	v_mul_f32_e32 v38, v49, v38                                // 00000001CA50: 0A4C4D31
	v_mov_b32_e32 v15, v112                                    // 00000001CA54: 7E1E0370
	v_add_f32_e32 v15, v113, v15                               // 00000001CA58: 021E1F71
	v_add_f32_e32 v15, v114, v15                               // 00000001CA5C: 021E1F72
	v_add_f32_e32 v15, v115, v15                               // 00000001CA60: 021E1F73
	v_add_f32_e32 v15, v116, v15                               // 00000001CA64: 021E1F74
	v_add_f32_e32 v15, v117, v15                               // 00000001CA68: 021E1F75
	v_add_f32_e32 v15, v118, v15                               // 00000001CA6C: 021E1F76
	v_add_f32_e32 v15, v119, v15                               // 00000001CA70: 021E1F77
	v_add_f32_e32 v15, v120, v15                               // 00000001CA74: 021E1F78
	v_add_f32_e32 v15, v121, v15                               // 00000001CA78: 021E1F79
	v_add_f32_e32 v15, v122, v15                               // 00000001CA7C: 021E1F7A
	v_add_f32_e32 v15, v123, v15                               // 00000001CA80: 021E1F7B
	v_add_f32_e32 v15, v124, v15                               // 00000001CA84: 021E1F7C
	v_add_f32_e32 v15, v125, v15                               // 00000001CA88: 021E1F7D
	v_add_f32_e32 v15, v126, v15                               // 00000001CA8C: 021E1F7E
	v_add_f32_e32 v15, v127, v15                               // 00000001CA90: 021E1F7F
	v_add_f32_e32 v38, v15, v38                                // 00000001CA94: 024C4D0F
	s_waitcnt lgkmcnt(0)                                       // 00000001CA98: BF8CC07F
	v_max3_f32 v48, |v64|, |v65|, v48                          // 00000001CA9C: D1D30330 04C28340
	v_max3_f32 v48, |v66|, |v67|, v48                          // 00000001CAA4: D1D30330 04C28742
	v_max3_f32 v48, |v68|, |v69|, v48                          // 00000001CAAC: D1D30330 04C28B44
	v_max3_f32 v48, |v70|, |v71|, v48                          // 00000001CAB4: D1D30330 04C28F46
	v_max3_f32 v48, |v72|, |v73|, v48                          // 00000001CABC: D1D30330 04C29348
	v_max3_f32 v48, |v74|, |v75|, v48                          // 00000001CAC4: D1D30330 04C2974A
	v_max3_f32 v48, |v76|, |v77|, v48                          // 00000001CACC: D1D30330 04C29B4C
	v_max3_f32 v48, |v78|, |v79|, v48                          // 00000001CAD4: D1D30330 04C29F4E
	s_nop 2                                                    // 00000001CADC: BF800002
	v_rcp_f32_e32 v48, v48                                     // 00000001CAE0: 7E604530
	s_nop 1                                                    // 00000001CAE4: BF800001
	v_mul_f32_e32 v48, 0x42fe0000, v48                         // 00000001CAE8: 0A6060FF 42FE0000
	v_mul_f32_e32 v112, v48, v240                              // 00000001CAF0: 0AE1E130
	v_mul_f32_e32 v113, v48, v241                              // 00000001CAF4: 0AE3E330
	v_mul_f32_e32 v114, v48, v242                              // 00000001CAF8: 0AE5E530
	v_mul_f32_e32 v115, v48, v243                              // 00000001CAFC: 0AE7E730
	v_mul_f32_e32 v116, v48, v244                              // 00000001CB00: 0AE9E930
	v_mul_f32_e32 v117, v48, v245                              // 00000001CB04: 0AEBEB30
	v_mul_f32_e32 v118, v48, v246                              // 00000001CB08: 0AEDED30
	v_mul_f32_e32 v119, v48, v247                              // 00000001CB0C: 0AEFEF30
	v_mul_f32_e32 v120, v48, v248                              // 00000001CB10: 0AF1F130
	v_mul_f32_e32 v121, v48, v249                              // 00000001CB14: 0AF3F330
	v_mul_f32_e32 v122, v48, v250                              // 00000001CB18: 0AF5F530
	v_mul_f32_e32 v123, v48, v251                              // 00000001CB1C: 0AF7F730
	v_mul_f32_e32 v124, v48, v252                              // 00000001CB20: 0AF9F930
	v_mul_f32_e32 v125, v48, v253                              // 00000001CB24: 0AFBFB30
	v_mul_f32_e32 v126, v48, v254                              // 00000001CB28: 0AFDFD30
	v_mul_f32_e32 v127, v48, v255                              // 00000001CB2C: 0AFFFF30
	v_cvt_i32_f32_e32 v112, v112                               // 00000001CB30: 7EE01170
	v_cvt_i32_f32_e32 v113, v113                               // 00000001CB34: 7EE21171
	v_cvt_i32_f32_e32 v114, v114                               // 00000001CB38: 7EE41172
	v_cvt_i32_f32_e32 v115, v115                               // 00000001CB3C: 7EE61173
	v_cvt_i32_f32_e32 v116, v116                               // 00000001CB40: 7EE81174
	v_cvt_i32_f32_e32 v117, v117                               // 00000001CB44: 7EEA1175
	v_cvt_i32_f32_e32 v118, v118                               // 00000001CB48: 7EEC1176
	v_cvt_i32_f32_e32 v119, v119                               // 00000001CB4C: 7EEE1177
	v_cvt_i32_f32_e32 v120, v120                               // 00000001CB50: 7EF01178
	v_cvt_i32_f32_e32 v121, v121                               // 00000001CB54: 7EF21179
	v_cvt_i32_f32_e32 v122, v122                               // 00000001CB58: 7EF4117A
	v_cvt_i32_f32_e32 v123, v123                               // 00000001CB5C: 7EF6117B
	v_cvt_i32_f32_e32 v124, v124                               // 00000001CB60: 7EF8117C
	v_cvt_i32_f32_e32 v125, v125                               // 00000001CB64: 7EFA117D
	v_cvt_i32_f32_e32 v126, v126                               // 00000001CB68: 7EFC117E
	v_cvt_i32_f32_e32 v127, v127                               // 00000001CB6C: 7EFE117F
	v_perm_b32 v112, v113, v112, s53                           // 00000001CB70: D1ED0070 00D6E171
	v_perm_b32 v112, v114, v112, s54                           // 00000001CB78: D1ED0070 00DAE172
	v_perm_b32 v112, v115, v112, s55                           // 00000001CB80: D1ED0070 00DEE173
	v_perm_b32 v113, v117, v116, s53                           // 00000001CB88: D1ED0071 00D6E975
	v_perm_b32 v113, v118, v113, s54                           // 00000001CB90: D1ED0071 00DAE376
	v_perm_b32 v113, v119, v113, s55                           // 00000001CB98: D1ED0071 00DEE377
	v_perm_b32 v114, v121, v120, s53                           // 00000001CBA0: D1ED0072 00D6F179
	v_perm_b32 v114, v122, v114, s54                           // 00000001CBA8: D1ED0072 00DAE57A
	v_perm_b32 v114, v123, v114, s55                           // 00000001CBB0: D1ED0072 00DEE57B
	v_perm_b32 v115, v125, v124, s53                           // 00000001CBB8: D1ED0073 00D6F97D
	v_perm_b32 v115, v126, v115, s54                           // 00000001CBC0: D1ED0073 00DAE77E
	v_perm_b32 v115, v127, v115, s55                           // 00000001CBC8: D1ED0073 00DEE77F
	ds_write_b32 v10, v112 offset:25088                        // 00000001CBD0: D81A6200 0000700A
	ds_write_b32 v10, v113 offset:26112                        // 00000001CBD8: D81A6600 0000710A
	ds_write_b32 v10, v114 offset:27136                        // 00000001CBE0: D81A6A00 0000720A
	ds_write_b32 v10, v115 offset:28160                        // 00000001CBE8: D81A6E00 0000730A
	v_add_f32_e32 v208, v208, v176                             // 00000001CBF0: 03A161D0
	v_add_f32_e32 v209, v209, v177                             // 00000001CBF4: 03A363D1
	v_add_f32_e32 v210, v210, v178                             // 00000001CBF8: 03A565D2
	v_add_f32_e32 v211, v211, v179                             // 00000001CBFC: 03A767D3
	v_add_f32_e32 v212, v212, v180                             // 00000001CC00: 03A969D4
	v_add_f32_e32 v213, v213, v181                             // 00000001CC04: 03AB6BD5
	v_add_f32_e32 v214, v214, v182                             // 00000001CC08: 03AD6DD6
	v_add_f32_e32 v215, v215, v183                             // 00000001CC0C: 03AF6FD7
	v_rcp_f32_e32 v44, v48                                     // 00000001CC10: 7E584530
	s_waitcnt lgkmcnt(0)                                       // 00000001CC14: BF8CC07F
	s_barrier                                                  // 00000001CC18: BF8A0000
	ds_read_b64 v[112:113], v9 offset:25088                    // 00000001CC1C: D8EC6200 70000009
	ds_read_b64 v[114:115], v9 offset:25216                    // 00000001CC24: D8EC6280 72000009
	ds_read_b64 v[116:117], v9 offset:26112                    // 00000001CC2C: D8EC6600 74000009
	ds_read_b64 v[118:119], v9 offset:26240                    // 00000001CC34: D8EC6680 76000009
	ds_read_b64 v[120:121], v9 offset:27136                    // 00000001CC3C: D8EC6A00 78000009
	ds_read_b64 v[122:123], v9 offset:27264                    // 00000001CC44: D8EC6A80 7A000009
	ds_read_b64 v[124:125], v9 offset:28160                    // 00000001CC4C: D8EC6E00 7C000009
	ds_read_b64 v[126:127], v9 offset:28288                    // 00000001CC54: D8EC6E80 7E000009
	v_mov_b32_dpp v64, v43 row_shr:4 row_mask:0xf bank_mask:0xf// 00000001CC5C: 7E8002FA FF01142B
	v_mov_b32_dpp v65, v43 row_shl:4 row_mask:0xf bank_mask:0xf// 00000001CC64: 7E8202FA FF01042B
	v_cndmask_b32_e64 v248, v43, v64, s[44:45]                 // 00000001CC6C: D10000F8 00B2812B
	v_cndmask_b32_e64 v249, v65, v43, s[44:45]                 // 00000001CC74: D10000F9 00B25741
	v_mov_b32_dpp v64, v248 row_shr:8 row_mask:0xf bank_mask:0xf// 00000001CC7C: 7E8002FA FF0118F8
	v_mov_b32_dpp v65, v248 row_shl:8 row_mask:0xf bank_mask:0xf// 00000001CC84: 7E8202FA FF0108F8
	v_mov_b32_dpp v66, v249 row_shr:8 row_mask:0xf bank_mask:0xf// 00000001CC8C: 7E8402FA FF0118F9
	v_mov_b32_dpp v67, v249 row_shl:8 row_mask:0xf bank_mask:0xf// 00000001CC94: 7E8602FA FF0108F9
	v_mov_b32_e32 v68, v248                                    // 00000001CC9C: 7E8803F8
	v_mov_b32_e32 v69, v249                                    // 00000001CCA0: 7E8A03F9
	v_cndmask_b32_e64 v248, v68, v64, s[42:43]                 // 00000001CCA4: D10000F8 00AA8144
	v_cndmask_b32_e64 v250, v68, v65, s[78:79]                 // 00000001CCAC: D10000FA 013A8344
	v_cndmask_b32_e64 v249, v69, v66, s[42:43]                 // 00000001CCB4: D10000F9 00AA8545
	v_cndmask_b32_e64 v251, v69, v67, s[78:79]                 // 00000001CCBC: D10000FB 013A8745
	v_mov_b32_dpp v64, v58 row_shr:4 row_mask:0xf bank_mask:0xf// 00000001CCC4: 7E8002FA FF01143A
	v_mov_b32_dpp v65, v58 row_shl:4 row_mask:0xf bank_mask:0xf// 00000001CCCC: 7E8202FA FF01043A
	v_cndmask_b32_e64 v252, v58, v64, s[44:45]                 // 00000001CCD4: D10000FC 00B2813A
	v_cndmask_b32_e64 v253, v65, v58, s[44:45]                 // 00000001CCDC: D10000FD 00B27541
	v_mov_b32_dpp v64, v252 row_shr:8 row_mask:0xf bank_mask:0xf// 00000001CCE4: 7E8002FA FF0118FC
	v_mov_b32_dpp v65, v252 row_shl:8 row_mask:0xf bank_mask:0xf// 00000001CCEC: 7E8202FA FF0108FC
	v_mov_b32_dpp v66, v253 row_shr:8 row_mask:0xf bank_mask:0xf// 00000001CCF4: 7E8402FA FF0118FD
	v_mov_b32_dpp v67, v253 row_shl:8 row_mask:0xf bank_mask:0xf// 00000001CCFC: 7E8602FA FF0108FD
	v_mov_b32_e32 v68, v252                                    // 00000001CD04: 7E8803FC
	v_mov_b32_e32 v69, v253                                    // 00000001CD08: 7E8A03FD
	v_cndmask_b32_e64 v252, v68, v64, s[42:43]                 // 00000001CD0C: D10000FC 00AA8144
	v_cndmask_b32_e64 v254, v68, v65, s[78:79]                 // 00000001CD14: D10000FE 013A8344
	v_cndmask_b32_e64 v253, v69, v66, s[42:43]                 // 00000001CD1C: D10000FD 00AA8545
	v_cndmask_b32_e64 v255, v69, v67, s[78:79]                 // 00000001CD24: D10000FF 013A8745
	v_cvt_f32_i32_e32 v128, v128                               // 00000001CD2C: 7F000B80
	v_cvt_f32_i32_e32 v129, v129                               // 00000001CD30: 7F020B81
	v_cvt_f32_i32_e32 v130, v130                               // 00000001CD34: 7F040B82
	v_cvt_f32_i32_e32 v131, v131                               // 00000001CD38: 7F060B83
	v_cvt_f32_i32_e32 v132, v132                               // 00000001CD3C: 7F080B84
	v_cvt_f32_i32_e32 v133, v133                               // 00000001CD40: 7F0A0B85
	v_cvt_f32_i32_e32 v134, v134                               // 00000001CD44: 7F0C0B86
	v_cvt_f32_i32_e32 v135, v135                               // 00000001CD48: 7F0E0B87
	v_cvt_f32_i32_e32 v136, v136                               // 00000001CD4C: 7F100B88
	v_cvt_f32_i32_e32 v137, v137                               // 00000001CD50: 7F120B89
	v_cvt_f32_i32_e32 v138, v138                               // 00000001CD54: 7F140B8A
	v_cvt_f32_i32_e32 v139, v139                               // 00000001CD58: 7F160B8B
	v_cvt_f32_i32_e32 v140, v140                               // 00000001CD5C: 7F180B8C
	v_cvt_f32_i32_e32 v141, v141                               // 00000001CD60: 7F1A0B8D
	v_cvt_f32_i32_e32 v142, v142                               // 00000001CD64: 7F1C0B8E
	v_cvt_f32_i32_e32 v143, v143                               // 00000001CD68: 7F1E0B8F
	v_mul_f32_e32 v128, v19, v128                              // 00000001CD6C: 0B010113
	v_mul_f32_e32 v129, v19, v129                              // 00000001CD70: 0B030313
	v_mul_f32_e32 v130, v19, v130                              // 00000001CD74: 0B050513
	v_mul_f32_e32 v131, v19, v131                              // 00000001CD78: 0B070713
	v_mul_f32_e32 v132, v19, v132                              // 00000001CD7C: 0B090913
	v_mul_f32_e32 v133, v19, v133                              // 00000001CD80: 0B0B0B13
	v_mul_f32_e32 v134, v19, v134                              // 00000001CD84: 0B0D0D13
	v_mul_f32_e32 v135, v19, v135                              // 00000001CD88: 0B0F0F13
	v_mul_f32_e32 v136, v19, v136                              // 00000001CD8C: 0B111113
	v_mul_f32_e32 v137, v19, v137                              // 00000001CD90: 0B131313
	v_mul_f32_e32 v138, v19, v138                              // 00000001CD94: 0B151513
	v_mul_f32_e32 v139, v19, v139                              // 00000001CD98: 0B171713
	v_mul_f32_e32 v140, v19, v140                              // 00000001CD9C: 0B191913
	v_mul_f32_e32 v141, v19, v141                              // 00000001CDA0: 0B1B1B13
	v_mul_f32_e32 v142, v19, v142                              // 00000001CDA4: 0B1D1D13
	v_mul_f32_e32 v143, v19, v143                              // 00000001CDA8: 0B1F1F13
	v_mul_f32_dpp v128, v248, v128 quad_perm:[0,0,0,0] row_mask:0xf bank_mask:0xf// 00000001CDAC: 0B0100FA FF0000F8
	v_mul_f32_dpp v129, v248, v129 quad_perm:[1,1,1,1] row_mask:0xf bank_mask:0xf// 00000001CDB4: 0B0302FA FF0055F8
	v_mul_f32_dpp v130, v248, v130 quad_perm:[2,2,2,2] row_mask:0xf bank_mask:0xf// 00000001CDBC: 0B0504FA FF00AAF8
	v_mul_f32_dpp v131, v248, v131 quad_perm:[3,3,3,3] row_mask:0xf bank_mask:0xf// 00000001CDC4: 0B0706FA FF00FFF8
	v_mul_f32_dpp v132, v249, v132 quad_perm:[0,0,0,0] row_mask:0xf bank_mask:0xf// 00000001CDCC: 0B0908FA FF0000F9
	v_mul_f32_dpp v133, v249, v133 quad_perm:[1,1,1,1] row_mask:0xf bank_mask:0xf// 00000001CDD4: 0B0B0AFA FF0055F9
	v_mul_f32_dpp v134, v249, v134 quad_perm:[2,2,2,2] row_mask:0xf bank_mask:0xf// 00000001CDDC: 0B0D0CFA FF00AAF9
	v_mul_f32_dpp v135, v249, v135 quad_perm:[3,3,3,3] row_mask:0xf bank_mask:0xf// 00000001CDE4: 0B0F0EFA FF00FFF9
	v_mul_f32_dpp v136, v250, v136 quad_perm:[0,0,0,0] row_mask:0xf bank_mask:0xf// 00000001CDEC: 0B1110FA FF0000FA
	v_mul_f32_dpp v137, v250, v137 quad_perm:[1,1,1,1] row_mask:0xf bank_mask:0xf// 00000001CDF4: 0B1312FA FF0055FA
	v_mul_f32_dpp v138, v250, v138 quad_perm:[2,2,2,2] row_mask:0xf bank_mask:0xf// 00000001CDFC: 0B1514FA FF00AAFA
	v_mul_f32_dpp v139, v250, v139 quad_perm:[3,3,3,3] row_mask:0xf bank_mask:0xf// 00000001CE04: 0B1716FA FF00FFFA
	v_mul_f32_dpp v140, v251, v140 quad_perm:[0,0,0,0] row_mask:0xf bank_mask:0xf// 00000001CE0C: 0B1918FA FF0000FB
	v_mul_f32_dpp v141, v251, v141 quad_perm:[1,1,1,1] row_mask:0xf bank_mask:0xf// 00000001CE14: 0B1B1AFA FF0055FB
	v_mul_f32_dpp v142, v251, v142 quad_perm:[2,2,2,2] row_mask:0xf bank_mask:0xf// 00000001CE1C: 0B1D1CFA FF00AAFB
	v_mul_f32_dpp v143, v251, v143 quad_perm:[3,3,3,3] row_mask:0xf bank_mask:0xf// 00000001CE24: 0B1F1EFA FF00FFFB
	s_cmp_le_i32 s90, s89                                      // 00000001CE2C: BF05595A
	s_cbranch_scc1 label_6B7E                                  // 00000001CE30: BF850071
	v_mov_b32_e32 v66, 0xff800000                              // 00000001CE34: 7E8402FF FF800000
	s_mov_b32 s60, s90                                         // 00000001CE3C: BEBC005A
	s_add_u32 s61, s89, 0xff                                   // 00000001CE40: 803DFF59 000000FF
	v_mov_b32_e32 v64, s61                                     // 00000001CE48: 7E80023D
	v_lshrrev_b32_e32 v240, 4, v0                              // 00000001CE4C: 21E00084
	v_mul_i32_i24_e32 v240, 4, v240                            // 00000001CE50: 0DE1E084
	v_add_u32_e32 v240, s60, v240                              // 00000001CE54: 69E1E03C
	s_mov_b32 s61, 1                                           // 00000001CE58: BEBD0081
	s_mul_i32 s60, 16, s7                                      // 00000001CE5C: 923C0790
	v_sub_u32_e64 v240, v240, s61                              // 00000001CE60: D13500F0 00007BF0
	v_add_u32_e32 v240, s60, v240                              // 00000001CE68: 69E1E03C
	v_add_u32_e32 v241, 1, v240                                // 00000001CE6C: 69E3E081
	v_add_u32_e32 v242, 2, v240                                // 00000001CE70: 69E5E082
	v_add_u32_e32 v243, 3, v240                                // 00000001CE74: 69E7E083
	v_cmp_le_u32_e64 s[40:41], v240, v64                       // 00000001CE78: D0CB0028 000281F0
	v_add_u32_e32 v240, 64, v240                               // 00000001CE80: 69E1E0C0
	s_nop 0                                                    // 00000001CE84: BF800000
	v_cndmask_b32_e64 v128, v66, v128, s[40:41]                // 00000001CE88: D1000080 00A30142
	v_cmp_le_u32_e64 s[40:41], v241, v64                       // 00000001CE90: D0CB0028 000281F1
	v_add_u32_e32 v241, 64, v241                               // 00000001CE98: 69E3E2C0
	s_nop 0                                                    // 00000001CE9C: BF800000
	v_cndmask_b32_e64 v129, v66, v129, s[40:41]                // 00000001CEA0: D1000081 00A30342
	v_cmp_le_u32_e64 s[40:41], v242, v64                       // 00000001CEA8: D0CB0028 000281F2
	v_add_u32_e32 v242, 64, v242                               // 00000001CEB0: 69E5E4C0
	s_nop 0                                                    // 00000001CEB4: BF800000
	v_cndmask_b32_e64 v130, v66, v130, s[40:41]                // 00000001CEB8: D1000082 00A30542
	v_cmp_le_u32_e64 s[40:41], v243, v64                       // 00000001CEC0: D0CB0028 000281F3
	v_add_u32_e32 v243, 64, v243                               // 00000001CEC8: 69E7E6C0
	s_nop 0                                                    // 00000001CECC: BF800000
	v_cndmask_b32_e64 v131, v66, v131, s[40:41]                // 00000001CED0: D1000083 00A30742
	v_cmp_le_u32_e64 s[40:41], v240, v64                       // 00000001CED8: D0CB0028 000281F0
	v_add_u32_e32 v240, 64, v240                               // 00000001CEE0: 69E1E0C0
	s_nop 0                                                    // 00000001CEE4: BF800000
	v_cndmask_b32_e64 v132, v66, v132, s[40:41]                // 00000001CEE8: D1000084 00A30942
	v_cmp_le_u32_e64 s[40:41], v241, v64                       // 00000001CEF0: D0CB0028 000281F1
	v_add_u32_e32 v241, 64, v241                               // 00000001CEF8: 69E3E2C0
	s_nop 0                                                    // 00000001CEFC: BF800000
	v_cndmask_b32_e64 v133, v66, v133, s[40:41]                // 00000001CF00: D1000085 00A30B42
	v_cmp_le_u32_e64 s[40:41], v242, v64                       // 00000001CF08: D0CB0028 000281F2
	v_add_u32_e32 v242, 64, v242                               // 00000001CF10: 69E5E4C0
	s_nop 0                                                    // 00000001CF14: BF800000
	v_cndmask_b32_e64 v134, v66, v134, s[40:41]                // 00000001CF18: D1000086 00A30D42
	v_cmp_le_u32_e64 s[40:41], v243, v64                       // 00000001CF20: D0CB0028 000281F3
	v_add_u32_e32 v243, 64, v243                               // 00000001CF28: 69E7E6C0
	s_nop 0                                                    // 00000001CF2C: BF800000
	v_cndmask_b32_e64 v135, v66, v135, s[40:41]                // 00000001CF30: D1000087 00A30F42
	v_cmp_le_u32_e64 s[40:41], v240, v64                       // 00000001CF38: D0CB0028 000281F0
	v_add_u32_e32 v240, 64, v240                               // 00000001CF40: 69E1E0C0
	s_nop 0                                                    // 00000001CF44: BF800000
	v_cndmask_b32_e64 v136, v66, v136, s[40:41]                // 00000001CF48: D1000088 00A31142
	v_cmp_le_u32_e64 s[40:41], v241, v64                       // 00000001CF50: D0CB0028 000281F1
	v_add_u32_e32 v241, 64, v241                               // 00000001CF58: 69E3E2C0
	s_nop 0                                                    // 00000001CF5C: BF800000
	v_cndmask_b32_e64 v137, v66, v137, s[40:41]                // 00000001CF60: D1000089 00A31342
	v_cmp_le_u32_e64 s[40:41], v242, v64                       // 00000001CF68: D0CB0028 000281F2
	v_add_u32_e32 v242, 64, v242                               // 00000001CF70: 69E5E4C0
	s_nop 0                                                    // 00000001CF74: BF800000
	v_cndmask_b32_e64 v138, v66, v138, s[40:41]                // 00000001CF78: D100008A 00A31542
	v_cmp_le_u32_e64 s[40:41], v243, v64                       // 00000001CF80: D0CB0028 000281F3
	v_add_u32_e32 v243, 64, v243                               // 00000001CF88: 69E7E6C0
	s_nop 0                                                    // 00000001CF8C: BF800000
	v_cndmask_b32_e64 v139, v66, v139, s[40:41]                // 00000001CF90: D100008B 00A31742
	v_cmp_le_u32_e64 s[40:41], v240, v64                       // 00000001CF98: D0CB0028 000281F0
	v_add_u32_e32 v240, 64, v240                               // 00000001CFA0: 69E1E0C0
	s_nop 0                                                    // 00000001CFA4: BF800000
	v_cndmask_b32_e64 v140, v66, v140, s[40:41]                // 00000001CFA8: D100008C 00A31942
	v_cmp_le_u32_e64 s[40:41], v241, v64                       // 00000001CFB0: D0CB0028 000281F1
	v_add_u32_e32 v241, 64, v241                               // 00000001CFB8: 69E3E2C0
	s_nop 0                                                    // 00000001CFBC: BF800000
	v_cndmask_b32_e64 v141, v66, v141, s[40:41]                // 00000001CFC0: D100008D 00A31B42
	v_cmp_le_u32_e64 s[40:41], v242, v64                       // 00000001CFC8: D0CB0028 000281F2
	v_add_u32_e32 v242, 64, v242                               // 00000001CFD0: 69E5E4C0
	s_nop 0                                                    // 00000001CFD4: BF800000
	v_cndmask_b32_e64 v142, v66, v142, s[40:41]                // 00000001CFD8: D100008E 00A31D42
	v_cmp_le_u32_e64 s[40:41], v243, v64                       // 00000001CFE0: D0CB0028 000281F3
	v_add_u32_e32 v243, 64, v243                               // 00000001CFE8: 69E7E6C0
	s_nop 0                                                    // 00000001CFEC: BF800000
	v_cndmask_b32_e64 v143, v66, v143, s[40:41]                // 00000001CFF0: D100008F 00A31F42

000000000001cff8 <label_6B7E>:
	s_and_b32 s60, s72, 0xff                                   // 00000001CFF8: 863CFF48 000000FF
	v_mov_b32_e32 v65, s60                                     // 00000001D000: 7E82023C
	v_lshrrev_b32_e32 v240, 4, v0                              // 00000001D004: 21E00084
	v_mul_i32_i24_e32 v240, 4, v240                            // 00000001D008: 0DE1E084
	s_mul_i32 s60, s7, 16                                      // 00000001D00C: 923C9007
	v_add_u32_e32 v240, s60, v240                              // 00000001D010: 69E1E03C
	v_add_u32_e32 v241, 1, v240                                // 00000001D014: 69E3E081
	v_add_u32_e32 v242, 2, v240                                // 00000001D018: 69E5E082
	v_add_u32_e32 v243, 3, v240                                // 00000001D01C: 69E7E083
	v_mov_b32_e32 v64, 0xff800000                              // 00000001D020: 7E8002FF FF800000
	v_cmp_lt_u32_e64 s[40:41], v240, v65                       // 00000001D028: D0C90028 000283F0
	v_add_u32_e32 v240, 64, v240                               // 00000001D030: 69E1E0C0
	s_nop 0                                                    // 00000001D034: BF800000
	v_cndmask_b32_e64 v128, v64, v128, s[40:41]                // 00000001D038: D1000080 00A30140
	v_cmp_lt_u32_e64 s[40:41], v241, v65                       // 00000001D040: D0C90028 000283F1
	v_add_u32_e32 v241, 64, v241                               // 00000001D048: 69E3E2C0
	s_nop 0                                                    // 00000001D04C: BF800000
	v_cndmask_b32_e64 v129, v64, v129, s[40:41]                // 00000001D050: D1000081 00A30340
	v_cmp_lt_u32_e64 s[40:41], v242, v65                       // 00000001D058: D0C90028 000283F2
	v_add_u32_e32 v242, 64, v242                               // 00000001D060: 69E5E4C0
	s_nop 0                                                    // 00000001D064: BF800000
	v_cndmask_b32_e64 v130, v64, v130, s[40:41]                // 00000001D068: D1000082 00A30540
	v_cmp_lt_u32_e64 s[40:41], v243, v65                       // 00000001D070: D0C90028 000283F3
	v_add_u32_e32 v243, 64, v243                               // 00000001D078: 69E7E6C0
	s_nop 0                                                    // 00000001D07C: BF800000
	v_cndmask_b32_e64 v131, v64, v131, s[40:41]                // 00000001D080: D1000083 00A30740
	v_cmp_lt_u32_e64 s[40:41], v240, v65                       // 00000001D088: D0C90028 000283F0
	v_add_u32_e32 v240, 64, v240                               // 00000001D090: 69E1E0C0
	s_nop 0                                                    // 00000001D094: BF800000
	v_cndmask_b32_e64 v132, v64, v132, s[40:41]                // 00000001D098: D1000084 00A30940
	v_cmp_lt_u32_e64 s[40:41], v241, v65                       // 00000001D0A0: D0C90028 000283F1
	v_add_u32_e32 v241, 64, v241                               // 00000001D0A8: 69E3E2C0
	s_nop 0                                                    // 00000001D0AC: BF800000
	v_cndmask_b32_e64 v133, v64, v133, s[40:41]                // 00000001D0B0: D1000085 00A30B40
	v_cmp_lt_u32_e64 s[40:41], v242, v65                       // 00000001D0B8: D0C90028 000283F2
	v_add_u32_e32 v242, 64, v242                               // 00000001D0C0: 69E5E4C0
	s_nop 0                                                    // 00000001D0C4: BF800000
	v_cndmask_b32_e64 v134, v64, v134, s[40:41]                // 00000001D0C8: D1000086 00A30D40
	v_cmp_lt_u32_e64 s[40:41], v243, v65                       // 00000001D0D0: D0C90028 000283F3
	v_add_u32_e32 v243, 64, v243                               // 00000001D0D8: 69E7E6C0
	s_nop 0                                                    // 00000001D0DC: BF800000
	v_cndmask_b32_e64 v135, v64, v135, s[40:41]                // 00000001D0E0: D1000087 00A30F40
	v_cmp_lt_u32_e64 s[40:41], v240, v65                       // 00000001D0E8: D0C90028 000283F0
	v_add_u32_e32 v240, 64, v240                               // 00000001D0F0: 69E1E0C0
	s_nop 0                                                    // 00000001D0F4: BF800000
	v_cndmask_b32_e64 v136, v64, v136, s[40:41]                // 00000001D0F8: D1000088 00A31140
	v_cmp_lt_u32_e64 s[40:41], v241, v65                       // 00000001D100: D0C90028 000283F1
	v_add_u32_e32 v241, 64, v241                               // 00000001D108: 69E3E2C0
	s_nop 0                                                    // 00000001D10C: BF800000
	v_cndmask_b32_e64 v137, v64, v137, s[40:41]                // 00000001D110: D1000089 00A31340
	v_cmp_lt_u32_e64 s[40:41], v242, v65                       // 00000001D118: D0C90028 000283F2
	v_add_u32_e32 v242, 64, v242                               // 00000001D120: 69E5E4C0
	s_nop 0                                                    // 00000001D124: BF800000
	v_cndmask_b32_e64 v138, v64, v138, s[40:41]                // 00000001D128: D100008A 00A31540
	v_cmp_lt_u32_e64 s[40:41], v243, v65                       // 00000001D130: D0C90028 000283F3
	v_add_u32_e32 v243, 64, v243                               // 00000001D138: 69E7E6C0
	s_nop 0                                                    // 00000001D13C: BF800000
	v_cndmask_b32_e64 v139, v64, v139, s[40:41]                // 00000001D140: D100008B 00A31740
	v_cmp_lt_u32_e64 s[40:41], v240, v65                       // 00000001D148: D0C90028 000283F0
	v_add_u32_e32 v240, 64, v240                               // 00000001D150: 69E1E0C0
	s_nop 0                                                    // 00000001D154: BF800000
	v_cndmask_b32_e64 v140, v64, v140, s[40:41]                // 00000001D158: D100008C 00A31940
	v_cmp_lt_u32_e64 s[40:41], v241, v65                       // 00000001D160: D0C90028 000283F1
	v_add_u32_e32 v241, 64, v241                               // 00000001D168: 69E3E2C0
	s_nop 0                                                    // 00000001D16C: BF800000
	v_cndmask_b32_e64 v141, v64, v141, s[40:41]                // 00000001D170: D100008D 00A31B40
	v_cmp_lt_u32_e64 s[40:41], v242, v65                       // 00000001D178: D0C90028 000283F2
	v_add_u32_e32 v242, 64, v242                               // 00000001D180: 69E5E4C0
	s_nop 0                                                    // 00000001D184: BF800000
	v_cndmask_b32_e64 v142, v64, v142, s[40:41]                // 00000001D188: D100008E 00A31D40
	v_cmp_lt_u32_e64 s[40:41], v243, v65                       // 00000001D190: D0C90028 000283F3
	v_add_u32_e32 v243, 64, v243                               // 00000001D198: 69E7E6C0
	s_nop 0                                                    // 00000001D19C: BF800000
	v_cndmask_b32_e64 v143, v64, v143, s[40:41]                // 00000001D1A0: D100008F 00A31F40
	v_mov_b32_e32 v48, v128                                    // 00000001D1A8: 7E600380
	v_max3_f32 v48, v128, v129, v48                            // 00000001D1AC: D1D30030 04C30380
	v_max3_f32 v48, v130, v131, v48                            // 00000001D1B4: D1D30030 04C30782
	v_max3_f32 v48, v132, v133, v48                            // 00000001D1BC: D1D30030 04C30B84
	v_max3_f32 v48, v134, v135, v48                            // 00000001D1C4: D1D30030 04C30F86
	v_max3_f32 v48, v136, v137, v48                            // 00000001D1CC: D1D30030 04C31388
	v_max3_f32 v48, v138, v139, v48                            // 00000001D1D4: D1D30030 04C3178A
	v_max3_f32 v48, v140, v141, v48                            // 00000001D1DC: D1D30030 04C31B8C
	v_max3_f32 v48, v142, v143, v48                            // 00000001D1E4: D1D30030 04C31F8E
	ds_write_b32 v8, v48 offset:16896                          // 00000001D1EC: D81A4200 00003008
	v_mul_f32_e32 v216, v50, v216                              // 00000001D1F4: 0BB1B132
	v_mul_f32_e32 v217, v50, v217                              // 00000001D1F8: 0BB3B332
	v_mul_f32_e32 v218, v50, v218                              // 00000001D1FC: 0BB5B532
	v_mul_f32_e32 v219, v50, v219                              // 00000001D200: 0BB7B732
	v_mul_f32_e32 v220, v50, v220                              // 00000001D204: 0BB9B932
	v_mul_f32_e32 v221, v50, v221                              // 00000001D208: 0BBBBB32
	v_mul_f32_e32 v222, v50, v222                              // 00000001D20C: 0BBDBD32
	v_mul_f32_e32 v223, v50, v223                              // 00000001D210: 0BBFBF32
	s_waitcnt lgkmcnt(0)                                       // 00000001D214: BF8CC07F
	s_barrier                                                  // 00000001D218: BF8A0000
	ds_read_b32 v64, v7 offset:16896                           // 00000001D21C: D86C4200 40000007
	ds_read_b32 v65, v7 offset:16960                           // 00000001D224: D86C4240 41000007
	ds_read_b32 v66, v7 offset:17024                           // 00000001D22C: D86C4280 42000007
	ds_read_b32 v67, v7 offset:17088                           // 00000001D234: D86C42C0 43000007
	ds_read_b32 v68, v7 offset:17152                           // 00000001D23C: D86C4300 44000007
	ds_read_b32 v69, v7 offset:17216                           // 00000001D244: D86C4340 45000007
	ds_read_b32 v70, v7 offset:17280                           // 00000001D24C: D86C4380 46000007
	ds_read_b32 v71, v7 offset:17344                           // 00000001D254: D86C43C0 47000007
	ds_read_b32 v72, v7 offset:17408                           // 00000001D25C: D86C4400 48000007
	ds_read_b32 v73, v7 offset:17472                           // 00000001D264: D86C4440 49000007
	ds_read_b32 v74, v7 offset:17536                           // 00000001D26C: D86C4480 4A000007
	ds_read_b32 v75, v7 offset:17600                           // 00000001D274: D86C44C0 4B000007
	ds_read_b32 v76, v7 offset:17664                           // 00000001D27C: D86C4500 4C000007
	ds_read_b32 v77, v7 offset:17728                           // 00000001D284: D86C4540 4D000007
	ds_read_b32 v78, v7 offset:17792                           // 00000001D28C: D86C4580 4E000007
	ds_read_b32 v79, v7 offset:17856                           // 00000001D294: D86C45C0 4F000007
	v_cvt_f32_i32_e32 v184, v184                               // 00000001D29C: 7F700BB8
	v_cvt_f32_i32_e32 v185, v185                               // 00000001D2A0: 7F720BB9
	v_cvt_f32_i32_e32 v186, v186                               // 00000001D2A4: 7F740BBA
	v_cvt_f32_i32_e32 v187, v187                               // 00000001D2A8: 7F760BBB
	v_cvt_f32_i32_e32 v188, v188                               // 00000001D2AC: 7F780BBC
	v_cvt_f32_i32_e32 v189, v189                               // 00000001D2B0: 7F7A0BBD
	v_cvt_f32_i32_e32 v190, v190                               // 00000001D2B4: 7F7C0BBE
	v_cvt_f32_i32_e32 v191, v191                               // 00000001D2B8: 7F7E0BBF
	v_mul_f32_e32 v184, v45, v184                              // 00000001D2BC: 0B71712D
	v_mul_f32_e32 v185, v45, v185                              // 00000001D2C0: 0B73732D
	v_mul_f32_e32 v186, v45, v186                              // 00000001D2C4: 0B75752D
	v_mul_f32_e32 v187, v45, v187                              // 00000001D2C8: 0B77772D
	v_mul_f32_e32 v188, v45, v188                              // 00000001D2CC: 0B79792D
	v_mul_f32_e32 v189, v45, v189                              // 00000001D2D0: 0B7B7B2D
	v_mul_f32_e32 v190, v45, v190                              // 00000001D2D4: 0B7D7D2D
	v_mul_f32_e32 v191, v45, v191                              // 00000001D2D8: 0B7F7F2D
	s_waitcnt lgkmcnt(0)                                       // 00000001D2DC: BF8CC07F
	v_max3_f32 v48, v64, v65, v48                              // 00000001D2E0: D1D30030 04C28340
	v_max3_f32 v48, v66, v67, v48                              // 00000001D2E8: D1D30030 04C28742
	v_max3_f32 v48, v68, v69, v48                              // 00000001D2F0: D1D30030 04C28B44
	v_max3_f32 v48, v70, v71, v48                              // 00000001D2F8: D1D30030 04C28F46
	v_max3_f32 v48, v72, v73, v48                              // 00000001D300: D1D30030 04C29348
	v_max3_f32 v48, v74, v75, v48                              // 00000001D308: D1D30030 04C2974A
	v_max3_f32 v48, v76, v77, v48                              // 00000001D310: D1D30030 04C29B4C
	v_max3_f32 v48, v78, v79, v48                              // 00000001D318: D1D30030 04C29F4E
	v_mov_b32_e32 v64, 0xff800000                              // 00000001D320: 7E8002FF FF800000
	v_cmp_eq_u32_e64 s[40:41], v64, v12                        // 00000001D328: D0CA0028 00021940
	s_nop 1                                                    // 00000001D330: BF800001
	v_max_f32_e32 v15, v48, v12                                // 00000001D334: 161E1930
	v_mul_f32_e32 v53, s64, v15                                // 00000001D338: 0A6A1E40
	v_fma_f32 v128, v128, s64, -v53                            // 00000001D33C: D1CB0080 84D48180
	v_fma_f32 v129, v129, s64, -v53                            // 00000001D344: D1CB0081 84D48181
	v_fma_f32 v130, v130, s64, -v53                            // 00000001D34C: D1CB0082 84D48182
	v_fma_f32 v131, v131, s64, -v53                            // 00000001D354: D1CB0083 84D48183
	v_fma_f32 v132, v132, s64, -v53                            // 00000001D35C: D1CB0084 84D48184
	v_fma_f32 v133, v133, s64, -v53                            // 00000001D364: D1CB0085 84D48185
	v_fma_f32 v134, v134, s64, -v53                            // 00000001D36C: D1CB0086 84D48186
	v_fma_f32 v135, v135, s64, -v53                            // 00000001D374: D1CB0087 84D48187
	v_fma_f32 v136, v136, s64, -v53                            // 00000001D37C: D1CB0088 84D48188
	v_fma_f32 v137, v137, s64, -v53                            // 00000001D384: D1CB0089 84D48189
	v_fma_f32 v138, v138, s64, -v53                            // 00000001D38C: D1CB008A 84D4818A
	v_fma_f32 v139, v139, s64, -v53                            // 00000001D394: D1CB008B 84D4818B
	v_fma_f32 v140, v140, s64, -v53                            // 00000001D39C: D1CB008C 84D4818C
	v_fma_f32 v141, v141, s64, -v53                            // 00000001D3A4: D1CB008D 84D4818D
	v_fma_f32 v142, v142, s64, -v53                            // 00000001D3AC: D1CB008E 84D4818E
	v_fma_f32 v143, v143, s64, -v53                            // 00000001D3B4: D1CB008F 84D4818F
	v_exp_f32_e32 v128, v128                                   // 00000001D3BC: 7F004180
	v_exp_f32_e32 v129, v129                                   // 00000001D3C0: 7F024181
	v_exp_f32_e32 v130, v130                                   // 00000001D3C4: 7F044182
	v_exp_f32_e32 v131, v131                                   // 00000001D3C8: 7F064183
	v_exp_f32_e32 v132, v132                                   // 00000001D3CC: 7F084184
	v_exp_f32_e32 v133, v133                                   // 00000001D3D0: 7F0A4185
	v_exp_f32_e32 v134, v134                                   // 00000001D3D4: 7F0C4186
	v_exp_f32_e32 v135, v135                                   // 00000001D3D8: 7F0E4187
	v_exp_f32_e32 v136, v136                                   // 00000001D3DC: 7F104188
	v_exp_f32_e32 v137, v137                                   // 00000001D3E0: 7F124189
	v_exp_f32_e32 v138, v138                                   // 00000001D3E4: 7F14418A
	v_exp_f32_e32 v139, v139                                   // 00000001D3E8: 7F16418B
	v_exp_f32_e32 v140, v140                                   // 00000001D3EC: 7F18418C
	v_exp_f32_e32 v141, v141                                   // 00000001D3F0: 7F1A418D
	v_exp_f32_e32 v142, v142                                   // 00000001D3F4: 7F1C418E
	v_exp_f32_e32 v143, v143                                   // 00000001D3F8: 7F1E418F
	v_mul_f32_dpp v240, v252, v128 quad_perm:[0,0,0,0] row_mask:0xf bank_mask:0xf// 00000001D3FC: 0BE100FA FF0000FC
	v_mul_f32_dpp v241, v252, v129 quad_perm:[1,1,1,1] row_mask:0xf bank_mask:0xf// 00000001D404: 0BE302FA FF0055FC
	v_mul_f32_dpp v242, v252, v130 quad_perm:[2,2,2,2] row_mask:0xf bank_mask:0xf// 00000001D40C: 0BE504FA FF00AAFC
	v_mul_f32_dpp v243, v252, v131 quad_perm:[3,3,3,3] row_mask:0xf bank_mask:0xf// 00000001D414: 0BE706FA FF00FFFC
	v_mul_f32_dpp v244, v253, v132 quad_perm:[0,0,0,0] row_mask:0xf bank_mask:0xf// 00000001D41C: 0BE908FA FF0000FD
	v_mul_f32_dpp v245, v253, v133 quad_perm:[1,1,1,1] row_mask:0xf bank_mask:0xf// 00000001D424: 0BEB0AFA FF0055FD
	v_mul_f32_dpp v246, v253, v134 quad_perm:[2,2,2,2] row_mask:0xf bank_mask:0xf// 00000001D42C: 0BED0CFA FF00AAFD
	v_mul_f32_dpp v247, v253, v135 quad_perm:[3,3,3,3] row_mask:0xf bank_mask:0xf// 00000001D434: 0BEF0EFA FF00FFFD
	v_mul_f32_dpp v248, v254, v136 quad_perm:[0,0,0,0] row_mask:0xf bank_mask:0xf// 00000001D43C: 0BF110FA FF0000FE
	v_mul_f32_dpp v249, v254, v137 quad_perm:[1,1,1,1] row_mask:0xf bank_mask:0xf// 00000001D444: 0BF312FA FF0055FE
	v_mul_f32_dpp v250, v254, v138 quad_perm:[2,2,2,2] row_mask:0xf bank_mask:0xf// 00000001D44C: 0BF514FA FF00AAFE
	v_mul_f32_dpp v251, v254, v139 quad_perm:[3,3,3,3] row_mask:0xf bank_mask:0xf// 00000001D454: 0BF716FA FF00FFFE
	v_mul_f32_dpp v252, v255, v140 quad_perm:[0,0,0,0] row_mask:0xf bank_mask:0xf// 00000001D45C: 0BF918FA FF0000FF
	v_mul_f32_dpp v253, v255, v141 quad_perm:[1,1,1,1] row_mask:0xf bank_mask:0xf// 00000001D464: 0BFB1AFA FF0055FF
	v_mul_f32_dpp v254, v255, v142 quad_perm:[2,2,2,2] row_mask:0xf bank_mask:0xf// 00000001D46C: 0BFD1CFA FF00AAFF
	v_mul_f32_dpp v255, v255, v143 quad_perm:[3,3,3,3] row_mask:0xf bank_mask:0xf// 00000001D474: 0BFF1EFA FF00FFFF
	v_mov_b32_e32 v48, 0x358637bd                              // 00000001D47C: 7E6002FF 358637BD
	v_max3_f32 v48, |v240|, |v241|, v48                        // 00000001D484: D1D30330 04C3E3F0
	v_max3_f32 v48, |v242|, |v243|, v48                        // 00000001D48C: D1D30330 04C3E7F2
	v_max3_f32 v48, |v244|, |v245|, v48                        // 00000001D494: D1D30330 04C3EBF4
	v_max3_f32 v48, |v246|, |v247|, v48                        // 00000001D49C: D1D30330 04C3EFF6
	v_max3_f32 v48, |v248|, |v249|, v48                        // 00000001D4A4: D1D30330 04C3F3F8
	v_max3_f32 v48, |v250|, |v251|, v48                        // 00000001D4AC: D1D30330 04C3F7FA
	v_max3_f32 v48, |v252|, |v253|, v48                        // 00000001D4B4: D1D30330 04C3FBFC
	v_max3_f32 v48, |v254|, |v255|, v48                        // 00000001D4BC: D1D30330 04C3FFFE
	ds_write_b32 v8, v48 offset:20992                          // 00000001D4C4: D81A5200 00003008
	v_sub_f32_e32 v50, v12, v15                                // 00000001D4CC: 04641F0C
	v_cndmask_b32_e64 v50, v50, 0, s[40:41]                    // 00000001D4D0: D1000032 00A10132
	v_mov_b32_e32 v12, v15                                     // 00000001D4D8: 7E18030F
	v_mul_f32_e32 v50, s64, v50                                // 00000001D4DC: 0A646440
	v_exp_f32_e32 v50, v50                                     // 00000001D4E0: 7E644132
	s_waitcnt lgkmcnt(0)                                       // 00000001D4E4: BF8CC07F
	s_barrier                                                  // 00000001D4E8: BF8A0000
	ds_read_b32 v64, v7 offset:20992                           // 00000001D4EC: D86C5200 40000007
	ds_read_b32 v65, v7 offset:21056                           // 00000001D4F4: D86C5240 41000007
	ds_read_b32 v66, v7 offset:21120                           // 00000001D4FC: D86C5280 42000007
	ds_read_b32 v67, v7 offset:21184                           // 00000001D504: D86C52C0 43000007
	ds_read_b32 v68, v7 offset:21248                           // 00000001D50C: D86C5300 44000007
	ds_read_b32 v69, v7 offset:21312                           // 00000001D514: D86C5340 45000007
	ds_read_b32 v70, v7 offset:21376                           // 00000001D51C: D86C5380 46000007
	ds_read_b32 v71, v7 offset:21440                           // 00000001D524: D86C53C0 47000007
	ds_read_b32 v72, v7 offset:21504                           // 00000001D52C: D86C5400 48000007
	ds_read_b32 v73, v7 offset:21568                           // 00000001D534: D86C5440 49000007
	ds_read_b32 v74, v7 offset:21632                           // 00000001D53C: D86C5480 4A000007
	ds_read_b32 v75, v7 offset:21696                           // 00000001D544: D86C54C0 4B000007
	ds_read_b32 v76, v7 offset:21760                           // 00000001D54C: D86C5500 4C000007
	ds_read_b32 v77, v7 offset:21824                           // 00000001D554: D86C5540 4D000007
	ds_read_b32 v78, v7 offset:21888                           // 00000001D55C: D86C5580 4E000007
	ds_read_b32 v79, v7 offset:21952                           // 00000001D564: D86C55C0 4F000007
	v_mul_f32_e32 v39, v50, v39                                // 00000001D56C: 0A4E4F32
	v_mov_b32_e32 v15, v128                                    // 00000001D570: 7E1E0380
	v_add_f32_e32 v15, v129, v15                               // 00000001D574: 021E1F81
	v_add_f32_e32 v15, v130, v15                               // 00000001D578: 021E1F82
	v_add_f32_e32 v15, v131, v15                               // 00000001D57C: 021E1F83
	v_add_f32_e32 v15, v132, v15                               // 00000001D580: 021E1F84
	v_add_f32_e32 v15, v133, v15                               // 00000001D584: 021E1F85
	v_add_f32_e32 v15, v134, v15                               // 00000001D588: 021E1F86
	v_add_f32_e32 v15, v135, v15                               // 00000001D58C: 021E1F87
	v_add_f32_e32 v15, v136, v15                               // 00000001D590: 021E1F88
	v_add_f32_e32 v15, v137, v15                               // 00000001D594: 021E1F89
	v_add_f32_e32 v15, v138, v15                               // 00000001D598: 021E1F8A
	v_add_f32_e32 v15, v139, v15                               // 00000001D59C: 021E1F8B
	v_add_f32_e32 v15, v140, v15                               // 00000001D5A0: 021E1F8C
	v_add_f32_e32 v15, v141, v15                               // 00000001D5A4: 021E1F8D
	v_add_f32_e32 v15, v142, v15                               // 00000001D5A8: 021E1F8E
	v_add_f32_e32 v15, v143, v15                               // 00000001D5AC: 021E1F8F
	v_add_f32_e32 v39, v15, v39                                // 00000001D5B0: 024E4F0F
	s_waitcnt lgkmcnt(0)                                       // 00000001D5B4: BF8CC07F
	v_max3_f32 v48, |v64|, |v65|, v48                          // 00000001D5B8: D1D30330 04C28340
	v_max3_f32 v48, |v66|, |v67|, v48                          // 00000001D5C0: D1D30330 04C28742
	v_max3_f32 v48, |v68|, |v69|, v48                          // 00000001D5C8: D1D30330 04C28B44
	v_max3_f32 v48, |v70|, |v71|, v48                          // 00000001D5D0: D1D30330 04C28F46
	v_max3_f32 v48, |v72|, |v73|, v48                          // 00000001D5D8: D1D30330 04C29348
	v_max3_f32 v48, |v74|, |v75|, v48                          // 00000001D5E0: D1D30330 04C2974A
	v_max3_f32 v48, |v76|, |v77|, v48                          // 00000001D5E8: D1D30330 04C29B4C
	v_max3_f32 v48, |v78|, |v79|, v48                          // 00000001D5F0: D1D30330 04C29F4E
	s_nop 2                                                    // 00000001D5F8: BF800002
	v_rcp_f32_e32 v48, v48                                     // 00000001D5FC: 7E604530
	s_nop 1                                                    // 00000001D600: BF800001
	v_mul_f32_e32 v48, 0x42fe0000, v48                         // 00000001D604: 0A6060FF 42FE0000
	v_mul_f32_e32 v128, v48, v240                              // 00000001D60C: 0B01E130
	v_mul_f32_e32 v129, v48, v241                              // 00000001D610: 0B03E330
	v_mul_f32_e32 v130, v48, v242                              // 00000001D614: 0B05E530
	v_mul_f32_e32 v131, v48, v243                              // 00000001D618: 0B07E730
	v_mul_f32_e32 v132, v48, v244                              // 00000001D61C: 0B09E930
	v_mul_f32_e32 v133, v48, v245                              // 00000001D620: 0B0BEB30
	v_mul_f32_e32 v134, v48, v246                              // 00000001D624: 0B0DED30
	v_mul_f32_e32 v135, v48, v247                              // 00000001D628: 0B0FEF30
	v_mul_f32_e32 v136, v48, v248                              // 00000001D62C: 0B11F130
	v_mul_f32_e32 v137, v48, v249                              // 00000001D630: 0B13F330
	v_mul_f32_e32 v138, v48, v250                              // 00000001D634: 0B15F530
	v_mul_f32_e32 v139, v48, v251                              // 00000001D638: 0B17F730
	v_mul_f32_e32 v140, v48, v252                              // 00000001D63C: 0B19F930
	v_mul_f32_e32 v141, v48, v253                              // 00000001D640: 0B1BFB30
	v_mul_f32_e32 v142, v48, v254                              // 00000001D644: 0B1DFD30
	v_mul_f32_e32 v143, v48, v255                              // 00000001D648: 0B1FFF30
	v_cvt_i32_f32_e32 v128, v128                               // 00000001D64C: 7F001180
	v_cvt_i32_f32_e32 v129, v129                               // 00000001D650: 7F021181
	v_cvt_i32_f32_e32 v130, v130                               // 00000001D654: 7F041182
	v_cvt_i32_f32_e32 v131, v131                               // 00000001D658: 7F061183
	v_cvt_i32_f32_e32 v132, v132                               // 00000001D65C: 7F081184
	v_cvt_i32_f32_e32 v133, v133                               // 00000001D660: 7F0A1185
	v_cvt_i32_f32_e32 v134, v134                               // 00000001D664: 7F0C1186
	v_cvt_i32_f32_e32 v135, v135                               // 00000001D668: 7F0E1187
	v_cvt_i32_f32_e32 v136, v136                               // 00000001D66C: 7F101188
	v_cvt_i32_f32_e32 v137, v137                               // 00000001D670: 7F121189
	v_cvt_i32_f32_e32 v138, v138                               // 00000001D674: 7F14118A
	v_cvt_i32_f32_e32 v139, v139                               // 00000001D678: 7F16118B
	v_cvt_i32_f32_e32 v140, v140                               // 00000001D67C: 7F18118C
	v_cvt_i32_f32_e32 v141, v141                               // 00000001D680: 7F1A118D
	v_cvt_i32_f32_e32 v142, v142                               // 00000001D684: 7F1C118E
	v_cvt_i32_f32_e32 v143, v143                               // 00000001D688: 7F1E118F
	v_perm_b32 v128, v129, v128, s53                           // 00000001D68C: D1ED0080 00D70181
	v_perm_b32 v128, v130, v128, s54                           // 00000001D694: D1ED0080 00DB0182
	v_perm_b32 v128, v131, v128, s55                           // 00000001D69C: D1ED0080 00DF0183
	v_perm_b32 v129, v133, v132, s53                           // 00000001D6A4: D1ED0081 00D70985
	v_perm_b32 v129, v134, v129, s54                           // 00000001D6AC: D1ED0081 00DB0386
	v_perm_b32 v129, v135, v129, s55                           // 00000001D6B4: D1ED0081 00DF0387
	v_perm_b32 v130, v137, v136, s53                           // 00000001D6BC: D1ED0082 00D71189
	v_perm_b32 v130, v138, v130, s54                           // 00000001D6C4: D1ED0082 00DB058A
	v_perm_b32 v130, v139, v130, s55                           // 00000001D6CC: D1ED0082 00DF058B
	v_perm_b32 v131, v141, v140, s53                           // 00000001D6D4: D1ED0083 00D7198D
	v_perm_b32 v131, v142, v131, s54                           // 00000001D6DC: D1ED0083 00DB078E
	v_perm_b32 v131, v143, v131, s55                           // 00000001D6E4: D1ED0083 00DF078F
	ds_write_b32 v10, v128 offset:29184                        // 00000001D6EC: D81A7200 0000800A
	ds_write_b32 v10, v129 offset:30208                        // 00000001D6F4: D81A7600 0000810A
	ds_write_b32 v10, v130 offset:31232                        // 00000001D6FC: D81A7A00 0000820A
	ds_write_b32 v10, v131 offset:32256                        // 00000001D704: D81A7E00 0000830A
	v_add_f32_e32 v216, v216, v184                             // 00000001D70C: 03B171D8
	v_add_f32_e32 v217, v217, v185                             // 00000001D710: 03B373D9
	v_add_f32_e32 v218, v218, v186                             // 00000001D714: 03B575DA
	v_add_f32_e32 v219, v219, v187                             // 00000001D718: 03B777DB
	v_add_f32_e32 v220, v220, v188                             // 00000001D71C: 03B979DC
	v_add_f32_e32 v221, v221, v189                             // 00000001D720: 03BB7BDD
	v_add_f32_e32 v222, v222, v190                             // 00000001D724: 03BD7DDE
	v_add_f32_e32 v223, v223, v191                             // 00000001D728: 03BF7FDF
	v_rcp_f32_e32 v45, v48                                     // 00000001D72C: 7E5A4530
	s_waitcnt lgkmcnt(0)                                       // 00000001D730: BF8CC07F
	s_barrier                                                  // 00000001D734: BF8A0000
	ds_read_b64 v[128:129], v9 offset:29184                    // 00000001D738: D8EC7200 80000009
	ds_read_b64 v[130:131], v9 offset:29312                    // 00000001D740: D8EC7280 82000009
	ds_read_b64 v[132:133], v9 offset:30208                    // 00000001D748: D8EC7600 84000009
	ds_read_b64 v[134:135], v9 offset:30336                    // 00000001D750: D8EC7680 86000009
	ds_read_b64 v[136:137], v9 offset:31232                    // 00000001D758: D8EC7A00 88000009
	ds_read_b64 v[138:139], v9 offset:31360                    // 00000001D760: D8EC7A80 8A000009
	ds_read_b64 v[140:141], v9 offset:32256                    // 00000001D768: D8EC7E00 8C000009
	ds_read_b64 v[142:143], v9 offset:32384                    // 00000001D770: D8EC7E80 8E000009
	v_mov_b32_dpp v64, v43 row_shr:4 row_mask:0xf bank_mask:0xf// 00000001D778: 7E8002FA FF01142B
	v_mov_b32_dpp v65, v43 row_shl:4 row_mask:0xf bank_mask:0xf// 00000001D780: 7E8202FA FF01042B
	v_cndmask_b32_e64 v248, v43, v64, s[44:45]                 // 00000001D788: D10000F8 00B2812B
	v_cndmask_b32_e64 v249, v65, v43, s[44:45]                 // 00000001D790: D10000F9 00B25741
	v_mov_b32_dpp v64, v248 row_shr:8 row_mask:0xf bank_mask:0xf// 00000001D798: 7E8002FA FF0118F8
	v_mov_b32_dpp v65, v248 row_shl:8 row_mask:0xf bank_mask:0xf// 00000001D7A0: 7E8202FA FF0108F8
	v_mov_b32_dpp v66, v249 row_shr:8 row_mask:0xf bank_mask:0xf// 00000001D7A8: 7E8402FA FF0118F9
	v_mov_b32_dpp v67, v249 row_shl:8 row_mask:0xf bank_mask:0xf// 00000001D7B0: 7E8602FA FF0108F9
	v_mov_b32_e32 v68, v248                                    // 00000001D7B8: 7E8803F8
	v_mov_b32_e32 v69, v249                                    // 00000001D7BC: 7E8A03F9
	v_cndmask_b32_e64 v248, v68, v64, s[42:43]                 // 00000001D7C0: D10000F8 00AA8144
	v_cndmask_b32_e64 v250, v68, v65, s[78:79]                 // 00000001D7C8: D10000FA 013A8344
	v_cndmask_b32_e64 v249, v69, v66, s[42:43]                 // 00000001D7D0: D10000F9 00AA8545
	v_cndmask_b32_e64 v251, v69, v67, s[78:79]                 // 00000001D7D8: D10000FB 013A8745
	v_mov_b32_dpp v64, v58 row_shr:4 row_mask:0xf bank_mask:0xf// 00000001D7E0: 7E8002FA FF01143A
	v_mov_b32_dpp v65, v58 row_shl:4 row_mask:0xf bank_mask:0xf// 00000001D7E8: 7E8202FA FF01043A
	v_cndmask_b32_e64 v252, v58, v64, s[44:45]                 // 00000001D7F0: D10000FC 00B2813A
	v_cndmask_b32_e64 v253, v65, v58, s[44:45]                 // 00000001D7F8: D10000FD 00B27541
	v_mov_b32_dpp v64, v252 row_shr:8 row_mask:0xf bank_mask:0xf// 00000001D800: 7E8002FA FF0118FC
	v_mov_b32_dpp v65, v252 row_shl:8 row_mask:0xf bank_mask:0xf// 00000001D808: 7E8202FA FF0108FC
	v_mov_b32_dpp v66, v253 row_shr:8 row_mask:0xf bank_mask:0xf// 00000001D810: 7E8402FA FF0118FD
	v_mov_b32_dpp v67, v253 row_shl:8 row_mask:0xf bank_mask:0xf// 00000001D818: 7E8602FA FF0108FD
	v_mov_b32_e32 v68, v252                                    // 00000001D820: 7E8803FC
	v_mov_b32_e32 v69, v253                                    // 00000001D824: 7E8A03FD
	v_cndmask_b32_e64 v252, v68, v64, s[42:43]                 // 00000001D828: D10000FC 00AA8144
	v_cndmask_b32_e64 v254, v68, v65, s[78:79]                 // 00000001D830: D10000FE 013A8344
	v_cndmask_b32_e64 v253, v69, v66, s[42:43]                 // 00000001D838: D10000FD 00AA8545
	v_cndmask_b32_e64 v255, v69, v67, s[78:79]                 // 00000001D840: D10000FF 013A8745
	v_cvt_f32_i32_e32 v144, v144                               // 00000001D848: 7F200B90
	v_cvt_f32_i32_e32 v145, v145                               // 00000001D84C: 7F220B91
	v_cvt_f32_i32_e32 v146, v146                               // 00000001D850: 7F240B92
	v_cvt_f32_i32_e32 v147, v147                               // 00000001D854: 7F260B93
	v_cvt_f32_i32_e32 v148, v148                               // 00000001D858: 7F280B94
	v_cvt_f32_i32_e32 v149, v149                               // 00000001D85C: 7F2A0B95
	v_cvt_f32_i32_e32 v150, v150                               // 00000001D860: 7F2C0B96
	v_cvt_f32_i32_e32 v151, v151                               // 00000001D864: 7F2E0B97
	v_cvt_f32_i32_e32 v152, v152                               // 00000001D868: 7F300B98
	v_cvt_f32_i32_e32 v153, v153                               // 00000001D86C: 7F320B99
	v_cvt_f32_i32_e32 v154, v154                               // 00000001D870: 7F340B9A
	v_cvt_f32_i32_e32 v155, v155                               // 00000001D874: 7F360B9B
	v_cvt_f32_i32_e32 v156, v156                               // 00000001D878: 7F380B9C
	v_cvt_f32_i32_e32 v157, v157                               // 00000001D87C: 7F3A0B9D
	v_cvt_f32_i32_e32 v158, v158                               // 00000001D880: 7F3C0B9E
	v_cvt_f32_i32_e32 v159, v159                               // 00000001D884: 7F3E0B9F
	v_mul_f32_e32 v144, v20, v144                              // 00000001D888: 0B212114
	v_mul_f32_e32 v145, v20, v145                              // 00000001D88C: 0B232314
	v_mul_f32_e32 v146, v20, v146                              // 00000001D890: 0B252514
	v_mul_f32_e32 v147, v20, v147                              // 00000001D894: 0B272714
	v_mul_f32_e32 v148, v20, v148                              // 00000001D898: 0B292914
	v_mul_f32_e32 v149, v20, v149                              // 00000001D89C: 0B2B2B14
	v_mul_f32_e32 v150, v20, v150                              // 00000001D8A0: 0B2D2D14
	v_mul_f32_e32 v151, v20, v151                              // 00000001D8A4: 0B2F2F14
	v_mul_f32_e32 v152, v20, v152                              // 00000001D8A8: 0B313114
	v_mul_f32_e32 v153, v20, v153                              // 00000001D8AC: 0B333314
	v_mul_f32_e32 v154, v20, v154                              // 00000001D8B0: 0B353514
	v_mul_f32_e32 v155, v20, v155                              // 00000001D8B4: 0B373714
	v_mul_f32_e32 v156, v20, v156                              // 00000001D8B8: 0B393914
	v_mul_f32_e32 v157, v20, v157                              // 00000001D8BC: 0B3B3B14
	v_mul_f32_e32 v158, v20, v158                              // 00000001D8C0: 0B3D3D14
	v_mul_f32_e32 v159, v20, v159                              // 00000001D8C4: 0B3F3F14
	v_mul_f32_dpp v144, v248, v144 quad_perm:[0,0,0,0] row_mask:0xf bank_mask:0xf// 00000001D8C8: 0B2120FA FF0000F8
	v_mul_f32_dpp v145, v248, v145 quad_perm:[1,1,1,1] row_mask:0xf bank_mask:0xf// 00000001D8D0: 0B2322FA FF0055F8
	v_mul_f32_dpp v146, v248, v146 quad_perm:[2,2,2,2] row_mask:0xf bank_mask:0xf// 00000001D8D8: 0B2524FA FF00AAF8
	v_mul_f32_dpp v147, v248, v147 quad_perm:[3,3,3,3] row_mask:0xf bank_mask:0xf// 00000001D8E0: 0B2726FA FF00FFF8
	v_mul_f32_dpp v148, v249, v148 quad_perm:[0,0,0,0] row_mask:0xf bank_mask:0xf// 00000001D8E8: 0B2928FA FF0000F9
	v_mul_f32_dpp v149, v249, v149 quad_perm:[1,1,1,1] row_mask:0xf bank_mask:0xf// 00000001D8F0: 0B2B2AFA FF0055F9
	v_mul_f32_dpp v150, v249, v150 quad_perm:[2,2,2,2] row_mask:0xf bank_mask:0xf// 00000001D8F8: 0B2D2CFA FF00AAF9
	v_mul_f32_dpp v151, v249, v151 quad_perm:[3,3,3,3] row_mask:0xf bank_mask:0xf// 00000001D900: 0B2F2EFA FF00FFF9
	v_mul_f32_dpp v152, v250, v152 quad_perm:[0,0,0,0] row_mask:0xf bank_mask:0xf// 00000001D908: 0B3130FA FF0000FA
	v_mul_f32_dpp v153, v250, v153 quad_perm:[1,1,1,1] row_mask:0xf bank_mask:0xf// 00000001D910: 0B3332FA FF0055FA
	v_mul_f32_dpp v154, v250, v154 quad_perm:[2,2,2,2] row_mask:0xf bank_mask:0xf// 00000001D918: 0B3534FA FF00AAFA
	v_mul_f32_dpp v155, v250, v155 quad_perm:[3,3,3,3] row_mask:0xf bank_mask:0xf// 00000001D920: 0B3736FA FF00FFFA
	v_mul_f32_dpp v156, v251, v156 quad_perm:[0,0,0,0] row_mask:0xf bank_mask:0xf// 00000001D928: 0B3938FA FF0000FB
	v_mul_f32_dpp v157, v251, v157 quad_perm:[1,1,1,1] row_mask:0xf bank_mask:0xf// 00000001D930: 0B3B3AFA FF0055FB
	v_mul_f32_dpp v158, v251, v158 quad_perm:[2,2,2,2] row_mask:0xf bank_mask:0xf// 00000001D938: 0B3D3CFA FF00AAFB
	v_mul_f32_dpp v159, v251, v159 quad_perm:[3,3,3,3] row_mask:0xf bank_mask:0xf// 00000001D940: 0B3F3EFA FF00FFFB
	s_cmp_le_i32 s90, s89                                      // 00000001D948: BF05595A
	s_cbranch_scc1 label_6E45                                  // 00000001D94C: BF850071
	v_mov_b32_e32 v66, 0xff800000                              // 00000001D950: 7E8402FF FF800000
	s_mov_b32 s60, s90                                         // 00000001D958: BEBC005A
	s_add_u32 s61, s89, 0xff                                   // 00000001D95C: 803DFF59 000000FF
	v_mov_b32_e32 v64, s61                                     // 00000001D964: 7E80023D
	v_lshrrev_b32_e32 v240, 4, v0                              // 00000001D968: 21E00084
	v_mul_i32_i24_e32 v240, 4, v240                            // 00000001D96C: 0DE1E084
	v_add_u32_e32 v240, s60, v240                              // 00000001D970: 69E1E03C
	s_mov_b32 s61, 2                                           // 00000001D974: BEBD0082
	s_mul_i32 s60, 16, s7                                      // 00000001D978: 923C0790
	v_sub_u32_e64 v240, v240, s61                              // 00000001D97C: D13500F0 00007BF0
	v_add_u32_e32 v240, s60, v240                              // 00000001D984: 69E1E03C
	v_add_u32_e32 v241, 1, v240                                // 00000001D988: 69E3E081
	v_add_u32_e32 v242, 2, v240                                // 00000001D98C: 69E5E082
	v_add_u32_e32 v243, 3, v240                                // 00000001D990: 69E7E083
	v_cmp_le_u32_e64 s[40:41], v240, v64                       // 00000001D994: D0CB0028 000281F0
	v_add_u32_e32 v240, 64, v240                               // 00000001D99C: 69E1E0C0
	s_nop 0                                                    // 00000001D9A0: BF800000
	v_cndmask_b32_e64 v144, v66, v144, s[40:41]                // 00000001D9A4: D1000090 00A32142
	v_cmp_le_u32_e64 s[40:41], v241, v64                       // 00000001D9AC: D0CB0028 000281F1
	v_add_u32_e32 v241, 64, v241                               // 00000001D9B4: 69E3E2C0
	s_nop 0                                                    // 00000001D9B8: BF800000
	v_cndmask_b32_e64 v145, v66, v145, s[40:41]                // 00000001D9BC: D1000091 00A32342
	v_cmp_le_u32_e64 s[40:41], v242, v64                       // 00000001D9C4: D0CB0028 000281F2
	v_add_u32_e32 v242, 64, v242                               // 00000001D9CC: 69E5E4C0
	s_nop 0                                                    // 00000001D9D0: BF800000
	v_cndmask_b32_e64 v146, v66, v146, s[40:41]                // 00000001D9D4: D1000092 00A32542
	v_cmp_le_u32_e64 s[40:41], v243, v64                       // 00000001D9DC: D0CB0028 000281F3
	v_add_u32_e32 v243, 64, v243                               // 00000001D9E4: 69E7E6C0
	s_nop 0                                                    // 00000001D9E8: BF800000
	v_cndmask_b32_e64 v147, v66, v147, s[40:41]                // 00000001D9EC: D1000093 00A32742
	v_cmp_le_u32_e64 s[40:41], v240, v64                       // 00000001D9F4: D0CB0028 000281F0
	v_add_u32_e32 v240, 64, v240                               // 00000001D9FC: 69E1E0C0
	s_nop 0                                                    // 00000001DA00: BF800000
	v_cndmask_b32_e64 v148, v66, v148, s[40:41]                // 00000001DA04: D1000094 00A32942
	v_cmp_le_u32_e64 s[40:41], v241, v64                       // 00000001DA0C: D0CB0028 000281F1
	v_add_u32_e32 v241, 64, v241                               // 00000001DA14: 69E3E2C0
	s_nop 0                                                    // 00000001DA18: BF800000
	v_cndmask_b32_e64 v149, v66, v149, s[40:41]                // 00000001DA1C: D1000095 00A32B42
	v_cmp_le_u32_e64 s[40:41], v242, v64                       // 00000001DA24: D0CB0028 000281F2
	v_add_u32_e32 v242, 64, v242                               // 00000001DA2C: 69E5E4C0
	s_nop 0                                                    // 00000001DA30: BF800000
	v_cndmask_b32_e64 v150, v66, v150, s[40:41]                // 00000001DA34: D1000096 00A32D42
	v_cmp_le_u32_e64 s[40:41], v243, v64                       // 00000001DA3C: D0CB0028 000281F3
	v_add_u32_e32 v243, 64, v243                               // 00000001DA44: 69E7E6C0
	s_nop 0                                                    // 00000001DA48: BF800000
	v_cndmask_b32_e64 v151, v66, v151, s[40:41]                // 00000001DA4C: D1000097 00A32F42
	v_cmp_le_u32_e64 s[40:41], v240, v64                       // 00000001DA54: D0CB0028 000281F0
	v_add_u32_e32 v240, 64, v240                               // 00000001DA5C: 69E1E0C0
	s_nop 0                                                    // 00000001DA60: BF800000
	v_cndmask_b32_e64 v152, v66, v152, s[40:41]                // 00000001DA64: D1000098 00A33142
	v_cmp_le_u32_e64 s[40:41], v241, v64                       // 00000001DA6C: D0CB0028 000281F1
	v_add_u32_e32 v241, 64, v241                               // 00000001DA74: 69E3E2C0
	s_nop 0                                                    // 00000001DA78: BF800000
	v_cndmask_b32_e64 v153, v66, v153, s[40:41]                // 00000001DA7C: D1000099 00A33342
	v_cmp_le_u32_e64 s[40:41], v242, v64                       // 00000001DA84: D0CB0028 000281F2
	v_add_u32_e32 v242, 64, v242                               // 00000001DA8C: 69E5E4C0
	s_nop 0                                                    // 00000001DA90: BF800000
	v_cndmask_b32_e64 v154, v66, v154, s[40:41]                // 00000001DA94: D100009A 00A33542
	v_cmp_le_u32_e64 s[40:41], v243, v64                       // 00000001DA9C: D0CB0028 000281F3
	v_add_u32_e32 v243, 64, v243                               // 00000001DAA4: 69E7E6C0
	s_nop 0                                                    // 00000001DAA8: BF800000
	v_cndmask_b32_e64 v155, v66, v155, s[40:41]                // 00000001DAAC: D100009B 00A33742
	v_cmp_le_u32_e64 s[40:41], v240, v64                       // 00000001DAB4: D0CB0028 000281F0
	v_add_u32_e32 v240, 64, v240                               // 00000001DABC: 69E1E0C0
	s_nop 0                                                    // 00000001DAC0: BF800000
	v_cndmask_b32_e64 v156, v66, v156, s[40:41]                // 00000001DAC4: D100009C 00A33942
	v_cmp_le_u32_e64 s[40:41], v241, v64                       // 00000001DACC: D0CB0028 000281F1
	v_add_u32_e32 v241, 64, v241                               // 00000001DAD4: 69E3E2C0
	s_nop 0                                                    // 00000001DAD8: BF800000
	v_cndmask_b32_e64 v157, v66, v157, s[40:41]                // 00000001DADC: D100009D 00A33B42
	v_cmp_le_u32_e64 s[40:41], v242, v64                       // 00000001DAE4: D0CB0028 000281F2
	v_add_u32_e32 v242, 64, v242                               // 00000001DAEC: 69E5E4C0
	s_nop 0                                                    // 00000001DAF0: BF800000
	v_cndmask_b32_e64 v158, v66, v158, s[40:41]                // 00000001DAF4: D100009E 00A33D42
	v_cmp_le_u32_e64 s[40:41], v243, v64                       // 00000001DAFC: D0CB0028 000281F3
	v_add_u32_e32 v243, 64, v243                               // 00000001DB04: 69E7E6C0
	s_nop 0                                                    // 00000001DB08: BF800000
	v_cndmask_b32_e64 v159, v66, v159, s[40:41]                // 00000001DB0C: D100009F 00A33F42

000000000001db14 <label_6E45>:
	s_add_u32 s90, s91, s90                                    // 00000001DB14: 805A5A5B
	s_and_b32 s60, s72, 0xff                                   // 00000001DB18: 863CFF48 000000FF
	v_mov_b32_e32 v65, s60                                     // 00000001DB20: 7E82023C
	v_lshrrev_b32_e32 v240, 4, v0                              // 00000001DB24: 21E00084
	v_mul_i32_i24_e32 v240, 4, v240                            // 00000001DB28: 0DE1E084
	s_mul_i32 s60, s7, 16                                      // 00000001DB2C: 923C9007
	v_add_u32_e32 v240, s60, v240                              // 00000001DB30: 69E1E03C
	v_add_u32_e32 v241, 1, v240                                // 00000001DB34: 69E3E081
	v_add_u32_e32 v242, 2, v240                                // 00000001DB38: 69E5E082
	v_add_u32_e32 v243, 3, v240                                // 00000001DB3C: 69E7E083
	v_mov_b32_e32 v64, 0xff800000                              // 00000001DB40: 7E8002FF FF800000
	v_cmp_lt_u32_e64 s[40:41], v240, v65                       // 00000001DB48: D0C90028 000283F0
	v_add_u32_e32 v240, 64, v240                               // 00000001DB50: 69E1E0C0
	s_nop 0                                                    // 00000001DB54: BF800000
	v_cndmask_b32_e64 v144, v64, v144, s[40:41]                // 00000001DB58: D1000090 00A32140
	v_cmp_lt_u32_e64 s[40:41], v241, v65                       // 00000001DB60: D0C90028 000283F1
	v_add_u32_e32 v241, 64, v241                               // 00000001DB68: 69E3E2C0
	s_nop 0                                                    // 00000001DB6C: BF800000
	v_cndmask_b32_e64 v145, v64, v145, s[40:41]                // 00000001DB70: D1000091 00A32340
	v_cmp_lt_u32_e64 s[40:41], v242, v65                       // 00000001DB78: D0C90028 000283F2
	v_add_u32_e32 v242, 64, v242                               // 00000001DB80: 69E5E4C0
	s_nop 0                                                    // 00000001DB84: BF800000
	v_cndmask_b32_e64 v146, v64, v146, s[40:41]                // 00000001DB88: D1000092 00A32540
	v_cmp_lt_u32_e64 s[40:41], v243, v65                       // 00000001DB90: D0C90028 000283F3
	v_add_u32_e32 v243, 64, v243                               // 00000001DB98: 69E7E6C0
	s_nop 0                                                    // 00000001DB9C: BF800000
	v_cndmask_b32_e64 v147, v64, v147, s[40:41]                // 00000001DBA0: D1000093 00A32740
	v_cmp_lt_u32_e64 s[40:41], v240, v65                       // 00000001DBA8: D0C90028 000283F0
	v_add_u32_e32 v240, 64, v240                               // 00000001DBB0: 69E1E0C0
	s_nop 0                                                    // 00000001DBB4: BF800000
	v_cndmask_b32_e64 v148, v64, v148, s[40:41]                // 00000001DBB8: D1000094 00A32940
	v_cmp_lt_u32_e64 s[40:41], v241, v65                       // 00000001DBC0: D0C90028 000283F1
	v_add_u32_e32 v241, 64, v241                               // 00000001DBC8: 69E3E2C0
	s_nop 0                                                    // 00000001DBCC: BF800000
	v_cndmask_b32_e64 v149, v64, v149, s[40:41]                // 00000001DBD0: D1000095 00A32B40
	v_cmp_lt_u32_e64 s[40:41], v242, v65                       // 00000001DBD8: D0C90028 000283F2
	v_add_u32_e32 v242, 64, v242                               // 00000001DBE0: 69E5E4C0
	s_nop 0                                                    // 00000001DBE4: BF800000
	v_cndmask_b32_e64 v150, v64, v150, s[40:41]                // 00000001DBE8: D1000096 00A32D40
	v_cmp_lt_u32_e64 s[40:41], v243, v65                       // 00000001DBF0: D0C90028 000283F3
	v_add_u32_e32 v243, 64, v243                               // 00000001DBF8: 69E7E6C0
	s_nop 0                                                    // 00000001DBFC: BF800000
	v_cndmask_b32_e64 v151, v64, v151, s[40:41]                // 00000001DC00: D1000097 00A32F40
	v_cmp_lt_u32_e64 s[40:41], v240, v65                       // 00000001DC08: D0C90028 000283F0
	v_add_u32_e32 v240, 64, v240                               // 00000001DC10: 69E1E0C0
	s_nop 0                                                    // 00000001DC14: BF800000
	v_cndmask_b32_e64 v152, v64, v152, s[40:41]                // 00000001DC18: D1000098 00A33140
	v_cmp_lt_u32_e64 s[40:41], v241, v65                       // 00000001DC20: D0C90028 000283F1
	v_add_u32_e32 v241, 64, v241                               // 00000001DC28: 69E3E2C0
	s_nop 0                                                    // 00000001DC2C: BF800000
	v_cndmask_b32_e64 v153, v64, v153, s[40:41]                // 00000001DC30: D1000099 00A33340
	v_cmp_lt_u32_e64 s[40:41], v242, v65                       // 00000001DC38: D0C90028 000283F2
	v_add_u32_e32 v242, 64, v242                               // 00000001DC40: 69E5E4C0
	s_nop 0                                                    // 00000001DC44: BF800000
	v_cndmask_b32_e64 v154, v64, v154, s[40:41]                // 00000001DC48: D100009A 00A33540
	v_cmp_lt_u32_e64 s[40:41], v243, v65                       // 00000001DC50: D0C90028 000283F3
	v_add_u32_e32 v243, 64, v243                               // 00000001DC58: 69E7E6C0
	s_nop 0                                                    // 00000001DC5C: BF800000
	v_cndmask_b32_e64 v155, v64, v155, s[40:41]                // 00000001DC60: D100009B 00A33740
	v_cmp_lt_u32_e64 s[40:41], v240, v65                       // 00000001DC68: D0C90028 000283F0
	v_add_u32_e32 v240, 64, v240                               // 00000001DC70: 69E1E0C0
	s_nop 0                                                    // 00000001DC74: BF800000
	v_cndmask_b32_e64 v156, v64, v156, s[40:41]                // 00000001DC78: D100009C 00A33940
	v_cmp_lt_u32_e64 s[40:41], v241, v65                       // 00000001DC80: D0C90028 000283F1
	v_add_u32_e32 v241, 64, v241                               // 00000001DC88: 69E3E2C0
	s_nop 0                                                    // 00000001DC8C: BF800000
	v_cndmask_b32_e64 v157, v64, v157, s[40:41]                // 00000001DC90: D100009D 00A33B40
	v_cmp_lt_u32_e64 s[40:41], v242, v65                       // 00000001DC98: D0C90028 000283F2
	v_add_u32_e32 v242, 64, v242                               // 00000001DCA0: 69E5E4C0
	s_nop 0                                                    // 00000001DCA4: BF800000
	v_cndmask_b32_e64 v158, v64, v158, s[40:41]                // 00000001DCA8: D100009E 00A33D40
	v_cmp_lt_u32_e64 s[40:41], v243, v65                       // 00000001DCB0: D0C90028 000283F3
	v_add_u32_e32 v243, 64, v243                               // 00000001DCB8: 69E7E6C0
	s_nop 0                                                    // 00000001DCBC: BF800000
	v_cndmask_b32_e64 v159, v64, v159, s[40:41]                // 00000001DCC0: D100009F 00A33F40
	v_mov_b32_e32 v48, v144                                    // 00000001DCC8: 7E600390
	v_max3_f32 v48, v144, v145, v48                            // 00000001DCCC: D1D30030 04C32390
	v_max3_f32 v48, v146, v147, v48                            // 00000001DCD4: D1D30030 04C32792
	v_max3_f32 v48, v148, v149, v48                            // 00000001DCDC: D1D30030 04C32B94
	v_max3_f32 v48, v150, v151, v48                            // 00000001DCE4: D1D30030 04C32F96
	v_max3_f32 v48, v152, v153, v48                            // 00000001DCEC: D1D30030 04C33398
	v_max3_f32 v48, v154, v155, v48                            // 00000001DCF4: D1D30030 04C3379A
	v_max3_f32 v48, v156, v157, v48                            // 00000001DCFC: D1D30030 04C33B9C
	v_max3_f32 v48, v158, v159, v48                            // 00000001DD04: D1D30030 04C33F9E
	ds_write_b32 v8, v48 offset:16896                          // 00000001DD0C: D81A4200 00003008
	v_mul_f32_e32 v224, v51, v224                              // 00000001DD14: 0BC1C133
	v_mul_f32_e32 v225, v51, v225                              // 00000001DD18: 0BC3C333
	v_mul_f32_e32 v226, v51, v226                              // 00000001DD1C: 0BC5C533
	v_mul_f32_e32 v227, v51, v227                              // 00000001DD20: 0BC7C733
	v_mul_f32_e32 v228, v51, v228                              // 00000001DD24: 0BC9C933
	v_mul_f32_e32 v229, v51, v229                              // 00000001DD28: 0BCBCB33
	v_mul_f32_e32 v230, v51, v230                              // 00000001DD2C: 0BCDCD33
	v_mul_f32_e32 v231, v51, v231                              // 00000001DD30: 0BCFCF33
	s_waitcnt lgkmcnt(0)                                       // 00000001DD34: BF8CC07F
	s_barrier                                                  // 00000001DD38: BF8A0000
	ds_read_b32 v64, v7 offset:16896                           // 00000001DD3C: D86C4200 40000007
	ds_read_b32 v65, v7 offset:16960                           // 00000001DD44: D86C4240 41000007
	ds_read_b32 v66, v7 offset:17024                           // 00000001DD4C: D86C4280 42000007
	ds_read_b32 v67, v7 offset:17088                           // 00000001DD54: D86C42C0 43000007
	ds_read_b32 v68, v7 offset:17152                           // 00000001DD5C: D86C4300 44000007
	ds_read_b32 v69, v7 offset:17216                           // 00000001DD64: D86C4340 45000007
	ds_read_b32 v70, v7 offset:17280                           // 00000001DD6C: D86C4380 46000007
	ds_read_b32 v71, v7 offset:17344                           // 00000001DD74: D86C43C0 47000007
	ds_read_b32 v72, v7 offset:17408                           // 00000001DD7C: D86C4400 48000007
	ds_read_b32 v73, v7 offset:17472                           // 00000001DD84: D86C4440 49000007
	ds_read_b32 v74, v7 offset:17536                           // 00000001DD8C: D86C4480 4A000007
	ds_read_b32 v75, v7 offset:17600                           // 00000001DD94: D86C44C0 4B000007
	ds_read_b32 v76, v7 offset:17664                           // 00000001DD9C: D86C4500 4C000007
	ds_read_b32 v77, v7 offset:17728                           // 00000001DDA4: D86C4540 4D000007
	ds_read_b32 v78, v7 offset:17792                           // 00000001DDAC: D86C4580 4E000007
	ds_read_b32 v79, v7 offset:17856                           // 00000001DDB4: D86C45C0 4F000007
	v_cvt_f32_i32_e32 v192, v192                               // 00000001DDBC: 7F800BC0
	v_cvt_f32_i32_e32 v193, v193                               // 00000001DDC0: 7F820BC1
	v_cvt_f32_i32_e32 v194, v194                               // 00000001DDC4: 7F840BC2
	v_cvt_f32_i32_e32 v195, v195                               // 00000001DDC8: 7F860BC3
	v_cvt_f32_i32_e32 v196, v196                               // 00000001DDCC: 7F880BC4
	v_cvt_f32_i32_e32 v197, v197                               // 00000001DDD0: 7F8A0BC5
	v_cvt_f32_i32_e32 v198, v198                               // 00000001DDD4: 7F8C0BC6
	v_cvt_f32_i32_e32 v199, v199                               // 00000001DDD8: 7F8E0BC7
	v_mul_f32_e32 v192, v46, v192                              // 00000001DDDC: 0B81812E
	v_mul_f32_e32 v193, v46, v193                              // 00000001DDE0: 0B83832E
	v_mul_f32_e32 v194, v46, v194                              // 00000001DDE4: 0B85852E
	v_mul_f32_e32 v195, v46, v195                              // 00000001DDE8: 0B87872E
	v_mul_f32_e32 v196, v46, v196                              // 00000001DDEC: 0B89892E
	v_mul_f32_e32 v197, v46, v197                              // 00000001DDF0: 0B8B8B2E
	v_mul_f32_e32 v198, v46, v198                              // 00000001DDF4: 0B8D8D2E
	v_mul_f32_e32 v199, v46, v199                              // 00000001DDF8: 0B8F8F2E
	s_waitcnt lgkmcnt(0)                                       // 00000001DDFC: BF8CC07F
	v_max3_f32 v48, v64, v65, v48                              // 00000001DE00: D1D30030 04C28340
	v_max3_f32 v48, v66, v67, v48                              // 00000001DE08: D1D30030 04C28742
	v_max3_f32 v48, v68, v69, v48                              // 00000001DE10: D1D30030 04C28B44
	v_max3_f32 v48, v70, v71, v48                              // 00000001DE18: D1D30030 04C28F46
	v_max3_f32 v48, v72, v73, v48                              // 00000001DE20: D1D30030 04C29348
	v_max3_f32 v48, v74, v75, v48                              // 00000001DE28: D1D30030 04C2974A
	v_max3_f32 v48, v76, v77, v48                              // 00000001DE30: D1D30030 04C29B4C
	v_max3_f32 v48, v78, v79, v48                              // 00000001DE38: D1D30030 04C29F4E
	v_mov_b32_e32 v64, 0xff800000                              // 00000001DE40: 7E8002FF FF800000
	v_cmp_eq_u32_e64 s[40:41], v64, v13                        // 00000001DE48: D0CA0028 00021B40
	s_nop 1                                                    // 00000001DE50: BF800001
	v_max_f32_e32 v15, v48, v13                                // 00000001DE54: 161E1B30
	v_mul_f32_e32 v53, s64, v15                                // 00000001DE58: 0A6A1E40
	v_fma_f32 v144, v144, s64, -v53                            // 00000001DE5C: D1CB0090 84D48190
	v_fma_f32 v145, v145, s64, -v53                            // 00000001DE64: D1CB0091 84D48191
	v_fma_f32 v146, v146, s64, -v53                            // 00000001DE6C: D1CB0092 84D48192
	v_fma_f32 v147, v147, s64, -v53                            // 00000001DE74: D1CB0093 84D48193
	v_fma_f32 v148, v148, s64, -v53                            // 00000001DE7C: D1CB0094 84D48194
	v_fma_f32 v149, v149, s64, -v53                            // 00000001DE84: D1CB0095 84D48195
	v_fma_f32 v150, v150, s64, -v53                            // 00000001DE8C: D1CB0096 84D48196
	v_fma_f32 v151, v151, s64, -v53                            // 00000001DE94: D1CB0097 84D48197
	v_fma_f32 v152, v152, s64, -v53                            // 00000001DE9C: D1CB0098 84D48198
	v_fma_f32 v153, v153, s64, -v53                            // 00000001DEA4: D1CB0099 84D48199
	v_fma_f32 v154, v154, s64, -v53                            // 00000001DEAC: D1CB009A 84D4819A
	v_fma_f32 v155, v155, s64, -v53                            // 00000001DEB4: D1CB009B 84D4819B
	v_fma_f32 v156, v156, s64, -v53                            // 00000001DEBC: D1CB009C 84D4819C
	v_fma_f32 v157, v157, s64, -v53                            // 00000001DEC4: D1CB009D 84D4819D
	v_fma_f32 v158, v158, s64, -v53                            // 00000001DECC: D1CB009E 84D4819E
	v_fma_f32 v159, v159, s64, -v53                            // 00000001DED4: D1CB009F 84D4819F
	v_exp_f32_e32 v144, v144                                   // 00000001DEDC: 7F204190
	v_exp_f32_e32 v145, v145                                   // 00000001DEE0: 7F224191
	v_exp_f32_e32 v146, v146                                   // 00000001DEE4: 7F244192
	v_exp_f32_e32 v147, v147                                   // 00000001DEE8: 7F264193
	v_exp_f32_e32 v148, v148                                   // 00000001DEEC: 7F284194
	v_exp_f32_e32 v149, v149                                   // 00000001DEF0: 7F2A4195
	v_exp_f32_e32 v150, v150                                   // 00000001DEF4: 7F2C4196
	v_exp_f32_e32 v151, v151                                   // 00000001DEF8: 7F2E4197
	v_exp_f32_e32 v152, v152                                   // 00000001DEFC: 7F304198
	v_exp_f32_e32 v153, v153                                   // 00000001DF00: 7F324199
	v_exp_f32_e32 v154, v154                                   // 00000001DF04: 7F34419A
	v_exp_f32_e32 v155, v155                                   // 00000001DF08: 7F36419B
	v_exp_f32_e32 v156, v156                                   // 00000001DF0C: 7F38419C
	v_exp_f32_e32 v157, v157                                   // 00000001DF10: 7F3A419D
	v_exp_f32_e32 v158, v158                                   // 00000001DF14: 7F3C419E
	v_exp_f32_e32 v159, v159                                   // 00000001DF18: 7F3E419F
	v_mul_f32_dpp v240, v252, v144 quad_perm:[0,0,0,0] row_mask:0xf bank_mask:0xf// 00000001DF1C: 0BE120FA FF0000FC
	v_mul_f32_dpp v241, v252, v145 quad_perm:[1,1,1,1] row_mask:0xf bank_mask:0xf// 00000001DF24: 0BE322FA FF0055FC
	v_mul_f32_dpp v242, v252, v146 quad_perm:[2,2,2,2] row_mask:0xf bank_mask:0xf// 00000001DF2C: 0BE524FA FF00AAFC
	v_mul_f32_dpp v243, v252, v147 quad_perm:[3,3,3,3] row_mask:0xf bank_mask:0xf// 00000001DF34: 0BE726FA FF00FFFC
	v_mul_f32_dpp v244, v253, v148 quad_perm:[0,0,0,0] row_mask:0xf bank_mask:0xf// 00000001DF3C: 0BE928FA FF0000FD
	v_mul_f32_dpp v245, v253, v149 quad_perm:[1,1,1,1] row_mask:0xf bank_mask:0xf// 00000001DF44: 0BEB2AFA FF0055FD
	v_mul_f32_dpp v246, v253, v150 quad_perm:[2,2,2,2] row_mask:0xf bank_mask:0xf// 00000001DF4C: 0BED2CFA FF00AAFD
	v_mul_f32_dpp v247, v253, v151 quad_perm:[3,3,3,3] row_mask:0xf bank_mask:0xf// 00000001DF54: 0BEF2EFA FF00FFFD
	v_mul_f32_dpp v248, v254, v152 quad_perm:[0,0,0,0] row_mask:0xf bank_mask:0xf// 00000001DF5C: 0BF130FA FF0000FE
	v_mul_f32_dpp v249, v254, v153 quad_perm:[1,1,1,1] row_mask:0xf bank_mask:0xf// 00000001DF64: 0BF332FA FF0055FE
	v_mul_f32_dpp v250, v254, v154 quad_perm:[2,2,2,2] row_mask:0xf bank_mask:0xf// 00000001DF6C: 0BF534FA FF00AAFE
	v_mul_f32_dpp v251, v254, v155 quad_perm:[3,3,3,3] row_mask:0xf bank_mask:0xf// 00000001DF74: 0BF736FA FF00FFFE
	v_mul_f32_dpp v252, v255, v156 quad_perm:[0,0,0,0] row_mask:0xf bank_mask:0xf// 00000001DF7C: 0BF938FA FF0000FF
	v_mul_f32_dpp v253, v255, v157 quad_perm:[1,1,1,1] row_mask:0xf bank_mask:0xf// 00000001DF84: 0BFB3AFA FF0055FF
	v_mul_f32_dpp v254, v255, v158 quad_perm:[2,2,2,2] row_mask:0xf bank_mask:0xf// 00000001DF8C: 0BFD3CFA FF00AAFF
	v_mul_f32_dpp v255, v255, v159 quad_perm:[3,3,3,3] row_mask:0xf bank_mask:0xf// 00000001DF94: 0BFF3EFA FF00FFFF
	v_mov_b32_e32 v48, 0x358637bd                              // 00000001DF9C: 7E6002FF 358637BD
	v_max3_f32 v48, |v240|, |v241|, v48                        // 00000001DFA4: D1D30330 04C3E3F0
	v_max3_f32 v48, |v242|, |v243|, v48                        // 00000001DFAC: D1D30330 04C3E7F2
	v_max3_f32 v48, |v244|, |v245|, v48                        // 00000001DFB4: D1D30330 04C3EBF4
	v_max3_f32 v48, |v246|, |v247|, v48                        // 00000001DFBC: D1D30330 04C3EFF6
	v_max3_f32 v48, |v248|, |v249|, v48                        // 00000001DFC4: D1D30330 04C3F3F8
	v_max3_f32 v48, |v250|, |v251|, v48                        // 00000001DFCC: D1D30330 04C3F7FA
	v_max3_f32 v48, |v252|, |v253|, v48                        // 00000001DFD4: D1D30330 04C3FBFC
	v_max3_f32 v48, |v254|, |v255|, v48                        // 00000001DFDC: D1D30330 04C3FFFE
	ds_write_b32 v8, v48 offset:20992                          // 00000001DFE4: D81A5200 00003008
	v_sub_f32_e32 v51, v13, v15                                // 00000001DFEC: 04661F0D
	v_cndmask_b32_e64 v51, v51, 0, s[40:41]                    // 00000001DFF0: D1000033 00A10133
	v_mov_b32_e32 v13, v15                                     // 00000001DFF8: 7E1A030F
	v_mul_f32_e32 v51, s64, v51                                // 00000001DFFC: 0A666640
	v_exp_f32_e32 v51, v51                                     // 00000001E000: 7E664133
	s_waitcnt lgkmcnt(0)                                       // 00000001E004: BF8CC07F
	s_barrier                                                  // 00000001E008: BF8A0000
	ds_read_b32 v64, v7 offset:20992                           // 00000001E00C: D86C5200 40000007
	ds_read_b32 v65, v7 offset:21056                           // 00000001E014: D86C5240 41000007
	ds_read_b32 v66, v7 offset:21120                           // 00000001E01C: D86C5280 42000007
	ds_read_b32 v67, v7 offset:21184                           // 00000001E024: D86C52C0 43000007
	ds_read_b32 v68, v7 offset:21248                           // 00000001E02C: D86C5300 44000007
	ds_read_b32 v69, v7 offset:21312                           // 00000001E034: D86C5340 45000007
	ds_read_b32 v70, v7 offset:21376                           // 00000001E03C: D86C5380 46000007
	ds_read_b32 v71, v7 offset:21440                           // 00000001E044: D86C53C0 47000007
	ds_read_b32 v72, v7 offset:21504                           // 00000001E04C: D86C5400 48000007
	ds_read_b32 v73, v7 offset:21568                           // 00000001E054: D86C5440 49000007
	ds_read_b32 v74, v7 offset:21632                           // 00000001E05C: D86C5480 4A000007
	ds_read_b32 v75, v7 offset:21696                           // 00000001E064: D86C54C0 4B000007
	ds_read_b32 v76, v7 offset:21760                           // 00000001E06C: D86C5500 4C000007
	ds_read_b32 v77, v7 offset:21824                           // 00000001E074: D86C5540 4D000007
	ds_read_b32 v78, v7 offset:21888                           // 00000001E07C: D86C5580 4E000007
	ds_read_b32 v79, v7 offset:21952                           // 00000001E084: D86C55C0 4F000007
	v_mul_f32_e32 v40, v51, v40                                // 00000001E08C: 0A505133
	v_mov_b32_e32 v15, v144                                    // 00000001E090: 7E1E0390
	v_add_f32_e32 v15, v145, v15                               // 00000001E094: 021E1F91
	v_add_f32_e32 v15, v146, v15                               // 00000001E098: 021E1F92
	v_add_f32_e32 v15, v147, v15                               // 00000001E09C: 021E1F93
	v_add_f32_e32 v15, v148, v15                               // 00000001E0A0: 021E1F94
	v_add_f32_e32 v15, v149, v15                               // 00000001E0A4: 021E1F95
	v_add_f32_e32 v15, v150, v15                               // 00000001E0A8: 021E1F96
	v_add_f32_e32 v15, v151, v15                               // 00000001E0AC: 021E1F97
	v_add_f32_e32 v15, v152, v15                               // 00000001E0B0: 021E1F98
	v_add_f32_e32 v15, v153, v15                               // 00000001E0B4: 021E1F99
	v_add_f32_e32 v15, v154, v15                               // 00000001E0B8: 021E1F9A
	v_add_f32_e32 v15, v155, v15                               // 00000001E0BC: 021E1F9B
	v_add_f32_e32 v15, v156, v15                               // 00000001E0C0: 021E1F9C
	v_add_f32_e32 v15, v157, v15                               // 00000001E0C4: 021E1F9D
	v_add_f32_e32 v15, v158, v15                               // 00000001E0C8: 021E1F9E
	v_add_f32_e32 v15, v159, v15                               // 00000001E0CC: 021E1F9F
	v_add_f32_e32 v40, v15, v40                                // 00000001E0D0: 0250510F
	s_waitcnt lgkmcnt(0)                                       // 00000001E0D4: BF8CC07F
	v_max3_f32 v48, |v64|, |v65|, v48                          // 00000001E0D8: D1D30330 04C28340
	v_max3_f32 v48, |v66|, |v67|, v48                          // 00000001E0E0: D1D30330 04C28742
	v_max3_f32 v48, |v68|, |v69|, v48                          // 00000001E0E8: D1D30330 04C28B44
	v_max3_f32 v48, |v70|, |v71|, v48                          // 00000001E0F0: D1D30330 04C28F46
	v_max3_f32 v48, |v72|, |v73|, v48                          // 00000001E0F8: D1D30330 04C29348
	v_max3_f32 v48, |v74|, |v75|, v48                          // 00000001E100: D1D30330 04C2974A
	v_max3_f32 v48, |v76|, |v77|, v48                          // 00000001E108: D1D30330 04C29B4C
	v_max3_f32 v48, |v78|, |v79|, v48                          // 00000001E110: D1D30330 04C29F4E
	s_nop 2                                                    // 00000001E118: BF800002
	v_rcp_f32_e32 v48, v48                                     // 00000001E11C: 7E604530
	s_nop 1                                                    // 00000001E120: BF800001
	v_mul_f32_e32 v48, 0x42fe0000, v48                         // 00000001E124: 0A6060FF 42FE0000
	v_mul_f32_e32 v144, v48, v240                              // 00000001E12C: 0B21E130
	v_mul_f32_e32 v145, v48, v241                              // 00000001E130: 0B23E330
	v_mul_f32_e32 v146, v48, v242                              // 00000001E134: 0B25E530
	v_mul_f32_e32 v147, v48, v243                              // 00000001E138: 0B27E730
	v_mul_f32_e32 v148, v48, v244                              // 00000001E13C: 0B29E930
	v_mul_f32_e32 v149, v48, v245                              // 00000001E140: 0B2BEB30
	v_mul_f32_e32 v150, v48, v246                              // 00000001E144: 0B2DED30
	v_mul_f32_e32 v151, v48, v247                              // 00000001E148: 0B2FEF30
	v_mul_f32_e32 v152, v48, v248                              // 00000001E14C: 0B31F130
	v_mul_f32_e32 v153, v48, v249                              // 00000001E150: 0B33F330
	v_mul_f32_e32 v154, v48, v250                              // 00000001E154: 0B35F530
	v_mul_f32_e32 v155, v48, v251                              // 00000001E158: 0B37F730
	v_mul_f32_e32 v156, v48, v252                              // 00000001E15C: 0B39F930
	v_mul_f32_e32 v157, v48, v253                              // 00000001E160: 0B3BFB30
	v_mul_f32_e32 v158, v48, v254                              // 00000001E164: 0B3DFD30
	v_mul_f32_e32 v159, v48, v255                              // 00000001E168: 0B3FFF30
	v_cvt_i32_f32_e32 v144, v144                               // 00000001E16C: 7F201190
	v_cvt_i32_f32_e32 v145, v145                               // 00000001E170: 7F221191
	v_cvt_i32_f32_e32 v146, v146                               // 00000001E174: 7F241192
	v_cvt_i32_f32_e32 v147, v147                               // 00000001E178: 7F261193
	v_cvt_i32_f32_e32 v148, v148                               // 00000001E17C: 7F281194
	v_cvt_i32_f32_e32 v149, v149                               // 00000001E180: 7F2A1195
	v_cvt_i32_f32_e32 v150, v150                               // 00000001E184: 7F2C1196
	v_cvt_i32_f32_e32 v151, v151                               // 00000001E188: 7F2E1197
	v_cvt_i32_f32_e32 v152, v152                               // 00000001E18C: 7F301198
	v_cvt_i32_f32_e32 v153, v153                               // 00000001E190: 7F321199
	v_cvt_i32_f32_e32 v154, v154                               // 00000001E194: 7F34119A
	v_cvt_i32_f32_e32 v155, v155                               // 00000001E198: 7F36119B
	v_cvt_i32_f32_e32 v156, v156                               // 00000001E19C: 7F38119C
	v_cvt_i32_f32_e32 v157, v157                               // 00000001E1A0: 7F3A119D
	v_cvt_i32_f32_e32 v158, v158                               // 00000001E1A4: 7F3C119E
	v_cvt_i32_f32_e32 v159, v159                               // 00000001E1A8: 7F3E119F
	v_perm_b32 v144, v145, v144, s53                           // 00000001E1AC: D1ED0090 00D72191
	v_perm_b32 v144, v146, v144, s54                           // 00000001E1B4: D1ED0090 00DB2192
	v_perm_b32 v144, v147, v144, s55                           // 00000001E1BC: D1ED0090 00DF2193
	v_perm_b32 v145, v149, v148, s53                           // 00000001E1C4: D1ED0091 00D72995
	v_perm_b32 v145, v150, v145, s54                           // 00000001E1CC: D1ED0091 00DB2396
	v_perm_b32 v145, v151, v145, s55                           // 00000001E1D4: D1ED0091 00DF2397
	v_perm_b32 v146, v153, v152, s53                           // 00000001E1DC: D1ED0092 00D73199
	v_perm_b32 v146, v154, v146, s54                           // 00000001E1E4: D1ED0092 00DB259A
	v_perm_b32 v146, v155, v146, s55                           // 00000001E1EC: D1ED0092 00DF259B
	v_perm_b32 v147, v157, v156, s53                           // 00000001E1F4: D1ED0093 00D7399D
	v_perm_b32 v147, v158, v147, s54                           // 00000001E1FC: D1ED0093 00DB279E
	v_perm_b32 v147, v159, v147, s55                           // 00000001E204: D1ED0093 00DF279F
	ds_write_b32 v10, v144 offset:33280                        // 00000001E20C: D81A8200 0000900A
	ds_write_b32 v10, v145 offset:34304                        // 00000001E214: D81A8600 0000910A
	ds_write_b32 v10, v146 offset:35328                        // 00000001E21C: D81A8A00 0000920A
	ds_write_b32 v10, v147 offset:36352                        // 00000001E224: D81A8E00 0000930A
	v_add_f32_e32 v224, v224, v192                             // 00000001E22C: 03C181E0
	v_add_f32_e32 v225, v225, v193                             // 00000001E230: 03C383E1
	v_add_f32_e32 v226, v226, v194                             // 00000001E234: 03C585E2
	v_add_f32_e32 v227, v227, v195                             // 00000001E238: 03C787E3
	v_add_f32_e32 v228, v228, v196                             // 00000001E23C: 03C989E4
	v_add_f32_e32 v229, v229, v197                             // 00000001E240: 03CB8BE5
	v_add_f32_e32 v230, v230, v198                             // 00000001E244: 03CD8DE6
	v_add_f32_e32 v231, v231, v199                             // 00000001E248: 03CF8FE7
	v_rcp_f32_e32 v46, v48                                     // 00000001E24C: 7E5C4530
	s_waitcnt lgkmcnt(0)                                       // 00000001E250: BF8CC07F
	s_barrier                                                  // 00000001E254: BF8A0000
	ds_read_b64 v[144:145], v9 offset:33280                    // 00000001E258: D8EC8200 90000009
	ds_read_b64 v[146:147], v9 offset:33408                    // 00000001E260: D8EC8280 92000009
	ds_read_b64 v[148:149], v9 offset:34304                    // 00000001E268: D8EC8600 94000009
	ds_read_b64 v[150:151], v9 offset:34432                    // 00000001E270: D8EC8680 96000009
	ds_read_b64 v[152:153], v9 offset:35328                    // 00000001E278: D8EC8A00 98000009
	ds_read_b64 v[154:155], v9 offset:35456                    // 00000001E280: D8EC8A80 9A000009
	ds_read_b64 v[156:157], v9 offset:36352                    // 00000001E288: D8EC8E00 9C000009
	ds_read_b64 v[158:159], v9 offset:36480                    // 00000001E290: D8EC8E80 9E000009
	s_waitcnt vmcnt(0)                                         // 00000001E298: BF8C0F70
	s_barrier                                                  // 00000001E29C: BF8A0000
	v_mfma_i32_16x16x32_i8 v[176:179], a[96:97], v[112:113], 0 // 00000001E2A0: D3D700B0 0A02E160
	v_mfma_i32_16x16x32_i8 v[176:179], a[98:99], v[114:115], v[176:179]// 00000001E2A8: D3D700B0 0EC2E562
	v_mfma_i32_16x16x32_i8 v[176:179], a[100:101], v[116:117], v[176:179]// 00000001E2B0: D3D700B0 0EC2E964
	v_mfma_i32_16x16x32_i8 v[176:179], a[102:103], v[118:119], v[176:179]// 00000001E2B8: D3D700B0 0EC2ED66
	v_mfma_i32_16x16x32_i8 v[176:179], a[104:105], v[120:121], v[176:179]// 00000001E2C0: D3D700B0 0EC2F168
	v_mfma_i32_16x16x32_i8 v[176:179], a[106:107], v[122:123], v[176:179]// 00000001E2C8: D3D700B0 0EC2F56A
	v_mfma_i32_16x16x32_i8 v[176:179], a[108:109], v[124:125], v[176:179]// 00000001E2D0: D3D700B0 0EC2F96C
	v_mfma_i32_16x16x32_i8 v[176:179], a[110:111], v[126:127], v[176:179]// 00000001E2D8: D3D700B0 0EC2FD6E
	v_mfma_i32_16x16x32_i8 v[180:183], a[112:113], v[112:113], 0// 00000001E2E0: D3D700B4 0A02E170
	v_mfma_i32_16x16x32_i8 v[180:183], a[114:115], v[114:115], v[180:183]// 00000001E2E8: D3D700B4 0ED2E572
	v_mfma_i32_16x16x32_i8 v[180:183], a[116:117], v[116:117], v[180:183]// 00000001E2F0: D3D700B4 0ED2E974
	v_mfma_i32_16x16x32_i8 v[180:183], a[118:119], v[118:119], v[180:183]// 00000001E2F8: D3D700B4 0ED2ED76
	v_mfma_i32_16x16x32_i8 v[180:183], a[120:121], v[120:121], v[180:183]// 00000001E300: D3D700B4 0ED2F178
	v_mfma_i32_16x16x32_i8 v[180:183], a[122:123], v[122:123], v[180:183]// 00000001E308: D3D700B4 0ED2F57A
	v_mfma_i32_16x16x32_i8 v[180:183], a[124:125], v[124:125], v[180:183]// 00000001E310: D3D700B4 0ED2F97C
	v_mfma_i32_16x16x32_i8 v[180:183], a[126:127], v[126:127], v[180:183]// 00000001E318: D3D700B4 0ED2FD7E
	v_mfma_i32_16x16x32_i8 v[184:187], a[96:97], v[128:129], 0 // 00000001E320: D3D700B8 0A030160
	v_mfma_i32_16x16x32_i8 v[184:187], a[98:99], v[130:131], v[184:187]// 00000001E328: D3D700B8 0EE30562
	v_mfma_i32_16x16x32_i8 v[184:187], a[100:101], v[132:133], v[184:187]// 00000001E330: D3D700B8 0EE30964
	v_mfma_i32_16x16x32_i8 v[184:187], a[102:103], v[134:135], v[184:187]// 00000001E338: D3D700B8 0EE30D66
	v_mfma_i32_16x16x32_i8 v[184:187], a[104:105], v[136:137], v[184:187]// 00000001E340: D3D700B8 0EE31168
	v_mfma_i32_16x16x32_i8 v[184:187], a[106:107], v[138:139], v[184:187]// 00000001E348: D3D700B8 0EE3156A
	v_mfma_i32_16x16x32_i8 v[184:187], a[108:109], v[140:141], v[184:187]// 00000001E350: D3D700B8 0EE3196C
	v_mfma_i32_16x16x32_i8 v[184:187], a[110:111], v[142:143], v[184:187]// 00000001E358: D3D700B8 0EE31D6E
	v_mfma_i32_16x16x32_i8 v[188:191], a[112:113], v[128:129], 0// 00000001E360: D3D700BC 0A030170
	v_mfma_i32_16x16x32_i8 v[188:191], a[114:115], v[130:131], v[188:191]// 00000001E368: D3D700BC 0EF30572
	v_mfma_i32_16x16x32_i8 v[188:191], a[116:117], v[132:133], v[188:191]// 00000001E370: D3D700BC 0EF30974
	v_mfma_i32_16x16x32_i8 v[188:191], a[118:119], v[134:135], v[188:191]// 00000001E378: D3D700BC 0EF30D76
	v_mfma_i32_16x16x32_i8 v[188:191], a[120:121], v[136:137], v[188:191]// 00000001E380: D3D700BC 0EF31178
	v_mfma_i32_16x16x32_i8 v[188:191], a[122:123], v[138:139], v[188:191]// 00000001E388: D3D700BC 0EF3157A
	v_mfma_i32_16x16x32_i8 v[188:191], a[124:125], v[140:141], v[188:191]// 00000001E390: D3D700BC 0EF3197C
	v_mfma_i32_16x16x32_i8 v[188:191], a[126:127], v[142:143], v[188:191]// 00000001E398: D3D700BC 0EF31D7E
	v_mfma_i32_16x16x32_i8 v[192:195], a[96:97], v[144:145], 0 // 00000001E3A0: D3D700C0 0A032160
	v_mfma_i32_16x16x32_i8 v[192:195], a[98:99], v[146:147], v[192:195]// 00000001E3A8: D3D700C0 0F032562
	v_mfma_i32_16x16x32_i8 v[192:195], a[100:101], v[148:149], v[192:195]// 00000001E3B0: D3D700C0 0F032964
	v_mfma_i32_16x16x32_i8 v[192:195], a[102:103], v[150:151], v[192:195]// 00000001E3B8: D3D700C0 0F032D66
	v_mfma_i32_16x16x32_i8 v[192:195], a[104:105], v[152:153], v[192:195]// 00000001E3C0: D3D700C0 0F033168
	v_mfma_i32_16x16x32_i8 v[192:195], a[106:107], v[154:155], v[192:195]// 00000001E3C8: D3D700C0 0F03356A
	v_mfma_i32_16x16x32_i8 v[192:195], a[108:109], v[156:157], v[192:195]// 00000001E3D0: D3D700C0 0F03396C
	v_mfma_i32_16x16x32_i8 v[192:195], a[110:111], v[158:159], v[192:195]// 00000001E3D8: D3D700C0 0F033D6E
	v_mfma_i32_16x16x32_i8 v[196:199], a[112:113], v[144:145], 0// 00000001E3E0: D3D700C4 0A032170
	v_mfma_i32_16x16x32_i8 v[196:199], a[114:115], v[146:147], v[196:199]// 00000001E3E8: D3D700C4 0F132572
	v_mfma_i32_16x16x32_i8 v[196:199], a[116:117], v[148:149], v[196:199]// 00000001E3F0: D3D700C4 0F132974
	v_mfma_i32_16x16x32_i8 v[196:199], a[118:119], v[150:151], v[196:199]// 00000001E3F8: D3D700C4 0F132D76
	v_mfma_i32_16x16x32_i8 v[196:199], a[120:121], v[152:153], v[196:199]// 00000001E400: D3D700C4 0F133178
	v_mfma_i32_16x16x32_i8 v[196:199], a[122:123], v[154:155], v[196:199]// 00000001E408: D3D700C4 0F13357A
	v_mfma_i32_16x16x32_i8 v[196:199], a[124:125], v[156:157], v[196:199]// 00000001E410: D3D700C4 0F13397C
	v_mfma_i32_16x16x32_i8 v[196:199], a[126:127], v[158:159], v[196:199]// 00000001E418: D3D700C4 0F133D7E
	s_nop 4                                                    // 00000001E420: BF800004
	s_branch label_708A                                        // 00000001E424: BF820000

000000000001e428 <label_708A>:
	v_mul_f32_e32 v208, v49, v208                              // 00000001E428: 0BA1A131
	v_mul_f32_e32 v209, v49, v209                              // 00000001E42C: 0BA3A331
	v_mul_f32_e32 v210, v49, v210                              // 00000001E430: 0BA5A531
	v_mul_f32_e32 v211, v49, v211                              // 00000001E434: 0BA7A731
	v_mul_f32_e32 v212, v49, v212                              // 00000001E438: 0BA9A931
	v_mul_f32_e32 v213, v49, v213                              // 00000001E43C: 0BABAB31
	v_mul_f32_e32 v214, v49, v214                              // 00000001E440: 0BADAD31
	v_mul_f32_e32 v215, v49, v215                              // 00000001E444: 0BAFAF31
	v_cvt_f32_i32_e32 v176, v176                               // 00000001E448: 7F600BB0
	v_cvt_f32_i32_e32 v177, v177                               // 00000001E44C: 7F620BB1
	v_cvt_f32_i32_e32 v178, v178                               // 00000001E450: 7F640BB2
	v_cvt_f32_i32_e32 v179, v179                               // 00000001E454: 7F660BB3
	v_cvt_f32_i32_e32 v180, v180                               // 00000001E458: 7F680BB4
	v_cvt_f32_i32_e32 v181, v181                               // 00000001E45C: 7F6A0BB5
	v_cvt_f32_i32_e32 v182, v182                               // 00000001E460: 7F6C0BB6
	v_cvt_f32_i32_e32 v183, v183                               // 00000001E464: 7F6E0BB7
	v_mul_f32_e32 v176, v44, v176                              // 00000001E468: 0B61612C
	v_mul_f32_e32 v177, v44, v177                              // 00000001E46C: 0B63632C
	v_mul_f32_e32 v178, v44, v178                              // 00000001E470: 0B65652C
	v_mul_f32_e32 v179, v44, v179                              // 00000001E474: 0B67672C
	v_mul_f32_e32 v180, v44, v180                              // 00000001E478: 0B69692C
	v_mul_f32_e32 v181, v44, v181                              // 00000001E47C: 0B6B6B2C
	v_mul_f32_e32 v182, v44, v182                              // 00000001E480: 0B6D6D2C
	v_mul_f32_e32 v183, v44, v183                              // 00000001E484: 0B6F6F2C
	v_add_f32_e32 v208, v208, v176                             // 00000001E488: 03A161D0
	v_add_f32_e32 v209, v209, v177                             // 00000001E48C: 03A363D1
	v_add_f32_e32 v210, v210, v178                             // 00000001E490: 03A565D2
	v_add_f32_e32 v211, v211, v179                             // 00000001E494: 03A767D3
	v_add_f32_e32 v212, v212, v180                             // 00000001E498: 03A969D4
	v_add_f32_e32 v213, v213, v181                             // 00000001E49C: 03AB6BD5
	v_add_f32_e32 v214, v214, v182                             // 00000001E4A0: 03AD6DD6
	v_add_f32_e32 v215, v215, v183                             // 00000001E4A4: 03AF6FD7
	ds_write_b32 v8, v38 offset:16896                          // 00000001E4A8: D81A4200 00002608
	s_waitcnt lgkmcnt(0)                                       // 00000001E4B0: BF8CC07F
	s_barrier                                                  // 00000001E4B4: BF8A0000
	ds_read_b32 v64, v7 offset:16896                           // 00000001E4B8: D86C4200 40000007
	ds_read_b32 v65, v7 offset:16960                           // 00000001E4C0: D86C4240 41000007
	ds_read_b32 v66, v7 offset:17024                           // 00000001E4C8: D86C4280 42000007
	ds_read_b32 v67, v7 offset:17088                           // 00000001E4D0: D86C42C0 43000007
	ds_read_b32 v68, v7 offset:17152                           // 00000001E4D8: D86C4300 44000007
	ds_read_b32 v69, v7 offset:17216                           // 00000001E4E0: D86C4340 45000007
	ds_read_b32 v70, v7 offset:17280                           // 00000001E4E8: D86C4380 46000007
	ds_read_b32 v71, v7 offset:17344                           // 00000001E4F0: D86C43C0 47000007
	ds_read_b32 v72, v7 offset:17408                           // 00000001E4F8: D86C4400 48000007
	ds_read_b32 v73, v7 offset:17472                           // 00000001E500: D86C4440 49000007
	ds_read_b32 v74, v7 offset:17536                           // 00000001E508: D86C4480 4A000007
	ds_read_b32 v75, v7 offset:17600                           // 00000001E510: D86C44C0 4B000007
	ds_read_b32 v76, v7 offset:17664                           // 00000001E518: D86C4500 4C000007
	ds_read_b32 v77, v7 offset:17728                           // 00000001E520: D86C4540 4D000007
	ds_read_b32 v78, v7 offset:17792                           // 00000001E528: D86C4580 4E000007
	ds_read_b32 v79, v7 offset:17856                           // 00000001E530: D86C45C0 4F000007
	s_waitcnt lgkmcnt(0)                                       // 00000001E538: BF8CC07F
	v_mov_b32_e32 v38, 0                                       // 00000001E53C: 7E4C0280
	v_add_f32_e32 v38, v64, v38                                // 00000001E540: 024C4D40
	v_add_f32_e32 v38, v65, v38                                // 00000001E544: 024C4D41
	v_add_f32_e32 v38, v66, v38                                // 00000001E548: 024C4D42
	v_add_f32_e32 v38, v67, v38                                // 00000001E54C: 024C4D43
	v_add_f32_e32 v38, v68, v38                                // 00000001E550: 024C4D44
	v_add_f32_e32 v38, v69, v38                                // 00000001E554: 024C4D45
	v_add_f32_e32 v38, v70, v38                                // 00000001E558: 024C4D46
	v_add_f32_e32 v38, v71, v38                                // 00000001E55C: 024C4D47
	v_add_f32_e32 v38, v72, v38                                // 00000001E560: 024C4D48
	v_add_f32_e32 v38, v73, v38                                // 00000001E564: 024C4D49
	v_add_f32_e32 v38, v74, v38                                // 00000001E568: 024C4D4A
	v_add_f32_e32 v38, v75, v38                                // 00000001E56C: 024C4D4B
	v_add_f32_e32 v38, v76, v38                                // 00000001E570: 024C4D4C
	v_add_f32_e32 v38, v77, v38                                // 00000001E574: 024C4D4D
	v_add_f32_e32 v38, v78, v38                                // 00000001E578: 024C4D4E
	v_add_f32_e32 v38, v79, v38                                // 00000001E57C: 024C4D4F
	s_nop 1                                                    // 00000001E580: BF800001
	v_rcp_f32_e32 v38, v38                                     // 00000001E584: 7E4C4526
	s_nop 1                                                    // 00000001E588: BF800001
	v_mul_f32_e32 v208, v38, v208                              // 00000001E58C: 0BA1A126
	v_mul_f32_e32 v209, v38, v209                              // 00000001E590: 0BA3A326
	v_mul_f32_e32 v210, v38, v210                              // 00000001E594: 0BA5A526
	v_mul_f32_e32 v211, v38, v211                              // 00000001E598: 0BA7A726
	v_mul_f32_e32 v212, v38, v212                              // 00000001E59C: 0BA9A926
	v_mul_f32_e32 v213, v38, v213                              // 00000001E5A0: 0BABAB26
	v_mul_f32_e32 v214, v38, v214                              // 00000001E5A4: 0BADAD26
	v_mul_f32_e32 v215, v38, v215                              // 00000001E5A8: 0BAFAF26
	v_mov_b32_e32 v19, 0xffff0000                              // 00000001E5AC: 7E2602FF FFFF0000
	v_mov_b32_e32 v20, 0x7fff0000                              // 00000001E5B4: 7E2802FF 7FFF0000
	v_mov_b32_e32 v21, 0x7fff                                  // 00000001E5BC: 7E2A02FF 00007FFF
	v_cvt_pkrtz_f16_f32 v64, v208, v209                        // 00000001E5C4: D2960040 0003A3D0
	v_mov_b32_e32 v208, v64                                    // 00000001E5CC: 7FA00340
	v_cvt_pkrtz_f16_f32 v64, v210, v211                        // 00000001E5D0: D2960040 0003A7D2
	v_mov_b32_e32 v209, v64                                    // 00000001E5D8: 7FA20340
	v_cvt_pkrtz_f16_f32 v64, v212, v213                        // 00000001E5DC: D2960040 0003ABD4
	v_mov_b32_e32 v210, v64                                    // 00000001E5E4: 7FA40340
	v_cvt_pkrtz_f16_f32 v64, v214, v215                        // 00000001E5E8: D2960040 0003AFD6
	v_mov_b32_e32 v211, v64                                    // 00000001E5F0: 7FA60340
	s_nop 1                                                    // 00000001E5F4: BF800001
	v_lshrrev_b32_e32 v64, 4, v0                               // 00000001E5F8: 20800084
	v_mul_i32_i24_e32 v68, 34, v64                             // 00000001E5FC: 0C8880A2
	v_and_b32_e32 v64, 15, v0                                  // 00000001E600: 2680008F
	v_mul_i32_i24_e32 v65, 2, v64                              // 00000001E604: 0C828082
	v_add_u32_e32 v68, v65, v68                                // 00000001E608: 68888941
	s_mul_i32 s60, s7, 0x88                                    // 00000001E60C: 923CFF07 00000088
	v_add_u32_e32 v68, s60, v68                                // 00000001E614: 6888883C
	v_lshlrev_b32_e32 v68, 2, v68                              // 00000001E618: 24888882
	ds_write_b64 v68, v[208:209] offset:41472                  // 00000001E61C: D89AA200 0000D044
	ds_write_b64 v68, v[210:211] offset:43648                  // 00000001E624: D89AAA80 0000D244
	v_lshrrev_b32_e32 v64, 1, v0                               // 00000001E62C: 20800081
	v_mul_i32_i24_e32 v68, 34, v64                             // 00000001E630: 0C8880A2
	v_and_b32_e32 v65, 1, v0                                   // 00000001E634: 26820081
	v_add_u32_e32 v68, v65, v68                                // 00000001E638: 68888941
	s_mul_i32 s60, s7, 2                                       // 00000001E63C: 923C8207
	v_add_u32_e32 v68, s60, v68                                // 00000001E640: 6888883C
	v_lshlrev_b32_e32 v68, 2, v68                              // 00000001E644: 24888882
	s_waitcnt lgkmcnt(0)                                       // 00000001E648: BF8CC07F
	s_barrier                                                  // 00000001E64C: BF8A0000
	ds_read_b32 v208, v68 offset:41472                         // 00000001E650: D86CA200 D0000044
	ds_read_b32 v209, v68 offset:41504                         // 00000001E658: D86CA220 D1000044
	ds_read_b32 v210, v68 offset:41536                         // 00000001E660: D86CA240 D2000044
	ds_read_b32 v211, v68 offset:41568                         // 00000001E668: D86CA260 D3000044
	s_mul_i32 s60, s7, 0x100                                   // 00000001E670: 923CFF07 00000100
	v_lshlrev_b32_e32 v64, 2, v0                               // 00000001E678: 24800082
	v_add_u32_e64 v64, v64, s60                                // 00000001E67C: D1340040 00007940
	s_waitcnt lgkmcnt(0)                                       // 00000001E684: BF8CC07F
	buffer_store_dword v208, v64, s[8:11], 0 offen             // 00000001E688: E0701000 8002D040
	buffer_store_dword v209, v64, s[8:11], 0 offen offset:1024 // 00000001E690: E0701400 8002D140
	buffer_store_dword v210, v64, s[8:11], 0 offen offset:2048 // 00000001E698: E0701800 8002D240
	buffer_store_dword v211, v64, s[8:11], 0 offen offset:3072 // 00000001E6A0: E0701C00 8002D340
	s_add_u32 s8, s75, s8                                      // 00000001E6A8: 8008084B
	s_addc_u32 s9, 0, s9                                       // 00000001E6AC: 82090980
	v_mul_f32_e32 v216, v50, v216                              // 00000001E6B0: 0BB1B132
	v_mul_f32_e32 v217, v50, v217                              // 00000001E6B4: 0BB3B332
	v_mul_f32_e32 v218, v50, v218                              // 00000001E6B8: 0BB5B532
	v_mul_f32_e32 v219, v50, v219                              // 00000001E6BC: 0BB7B732
	v_mul_f32_e32 v220, v50, v220                              // 00000001E6C0: 0BB9B932
	v_mul_f32_e32 v221, v50, v221                              // 00000001E6C4: 0BBBBB32
	v_mul_f32_e32 v222, v50, v222                              // 00000001E6C8: 0BBDBD32
	v_mul_f32_e32 v223, v50, v223                              // 00000001E6CC: 0BBFBF32
	v_cvt_f32_i32_e32 v184, v184                               // 00000001E6D0: 7F700BB8
	v_cvt_f32_i32_e32 v185, v185                               // 00000001E6D4: 7F720BB9
	v_cvt_f32_i32_e32 v186, v186                               // 00000001E6D8: 7F740BBA
	v_cvt_f32_i32_e32 v187, v187                               // 00000001E6DC: 7F760BBB
	v_cvt_f32_i32_e32 v188, v188                               // 00000001E6E0: 7F780BBC
	v_cvt_f32_i32_e32 v189, v189                               // 00000001E6E4: 7F7A0BBD
	v_cvt_f32_i32_e32 v190, v190                               // 00000001E6E8: 7F7C0BBE
	v_cvt_f32_i32_e32 v191, v191                               // 00000001E6EC: 7F7E0BBF
	v_mul_f32_e32 v184, v45, v184                              // 00000001E6F0: 0B71712D
	v_mul_f32_e32 v185, v45, v185                              // 00000001E6F4: 0B73732D
	v_mul_f32_e32 v186, v45, v186                              // 00000001E6F8: 0B75752D
	v_mul_f32_e32 v187, v45, v187                              // 00000001E6FC: 0B77772D
	v_mul_f32_e32 v188, v45, v188                              // 00000001E700: 0B79792D
	v_mul_f32_e32 v189, v45, v189                              // 00000001E704: 0B7B7B2D
	v_mul_f32_e32 v190, v45, v190                              // 00000001E708: 0B7D7D2D
	v_mul_f32_e32 v191, v45, v191                              // 00000001E70C: 0B7F7F2D
	v_add_f32_e32 v216, v216, v184                             // 00000001E710: 03B171D8
	v_add_f32_e32 v217, v217, v185                             // 00000001E714: 03B373D9
	v_add_f32_e32 v218, v218, v186                             // 00000001E718: 03B575DA
	v_add_f32_e32 v219, v219, v187                             // 00000001E71C: 03B777DB
	v_add_f32_e32 v220, v220, v188                             // 00000001E720: 03B979DC
	v_add_f32_e32 v221, v221, v189                             // 00000001E724: 03BB7BDD
	v_add_f32_e32 v222, v222, v190                             // 00000001E728: 03BD7DDE
	v_add_f32_e32 v223, v223, v191                             // 00000001E72C: 03BF7FDF
	ds_write_b32 v8, v39 offset:16896                          // 00000001E730: D81A4200 00002708
	s_waitcnt lgkmcnt(0)                                       // 00000001E738: BF8CC07F
	s_barrier                                                  // 00000001E73C: BF8A0000
	ds_read_b32 v64, v7 offset:16896                           // 00000001E740: D86C4200 40000007
	ds_read_b32 v65, v7 offset:16960                           // 00000001E748: D86C4240 41000007
	ds_read_b32 v66, v7 offset:17024                           // 00000001E750: D86C4280 42000007
	ds_read_b32 v67, v7 offset:17088                           // 00000001E758: D86C42C0 43000007
	ds_read_b32 v68, v7 offset:17152                           // 00000001E760: D86C4300 44000007
	ds_read_b32 v69, v7 offset:17216                           // 00000001E768: D86C4340 45000007
	ds_read_b32 v70, v7 offset:17280                           // 00000001E770: D86C4380 46000007
	ds_read_b32 v71, v7 offset:17344                           // 00000001E778: D86C43C0 47000007
	ds_read_b32 v72, v7 offset:17408                           // 00000001E780: D86C4400 48000007
	ds_read_b32 v73, v7 offset:17472                           // 00000001E788: D86C4440 49000007
	ds_read_b32 v74, v7 offset:17536                           // 00000001E790: D86C4480 4A000007
	ds_read_b32 v75, v7 offset:17600                           // 00000001E798: D86C44C0 4B000007
	ds_read_b32 v76, v7 offset:17664                           // 00000001E7A0: D86C4500 4C000007
	ds_read_b32 v77, v7 offset:17728                           // 00000001E7A8: D86C4540 4D000007
	ds_read_b32 v78, v7 offset:17792                           // 00000001E7B0: D86C4580 4E000007
	ds_read_b32 v79, v7 offset:17856                           // 00000001E7B8: D86C45C0 4F000007
	s_waitcnt lgkmcnt(0)                                       // 00000001E7C0: BF8CC07F
	v_mov_b32_e32 v39, 0                                       // 00000001E7C4: 7E4E0280
	v_add_f32_e32 v39, v64, v39                                // 00000001E7C8: 024E4F40
	v_add_f32_e32 v39, v65, v39                                // 00000001E7CC: 024E4F41
	v_add_f32_e32 v39, v66, v39                                // 00000001E7D0: 024E4F42
	v_add_f32_e32 v39, v67, v39                                // 00000001E7D4: 024E4F43
	v_add_f32_e32 v39, v68, v39                                // 00000001E7D8: 024E4F44
	v_add_f32_e32 v39, v69, v39                                // 00000001E7DC: 024E4F45
	v_add_f32_e32 v39, v70, v39                                // 00000001E7E0: 024E4F46
	v_add_f32_e32 v39, v71, v39                                // 00000001E7E4: 024E4F47
	v_add_f32_e32 v39, v72, v39                                // 00000001E7E8: 024E4F48
	v_add_f32_e32 v39, v73, v39                                // 00000001E7EC: 024E4F49
	v_add_f32_e32 v39, v74, v39                                // 00000001E7F0: 024E4F4A
	v_add_f32_e32 v39, v75, v39                                // 00000001E7F4: 024E4F4B
	v_add_f32_e32 v39, v76, v39                                // 00000001E7F8: 024E4F4C
	v_add_f32_e32 v39, v77, v39                                // 00000001E7FC: 024E4F4D
	v_add_f32_e32 v39, v78, v39                                // 00000001E800: 024E4F4E
	v_add_f32_e32 v39, v79, v39                                // 00000001E804: 024E4F4F
	s_nop 1                                                    // 00000001E808: BF800001
	v_rcp_f32_e32 v39, v39                                     // 00000001E80C: 7E4E4527
	s_nop 1                                                    // 00000001E810: BF800001
	v_mul_f32_e32 v216, v39, v216                              // 00000001E814: 0BB1B127
	v_mul_f32_e32 v217, v39, v217                              // 00000001E818: 0BB3B327
	v_mul_f32_e32 v218, v39, v218                              // 00000001E81C: 0BB5B527
	v_mul_f32_e32 v219, v39, v219                              // 00000001E820: 0BB7B727
	v_mul_f32_e32 v220, v39, v220                              // 00000001E824: 0BB9B927
	v_mul_f32_e32 v221, v39, v221                              // 00000001E828: 0BBBBB27
	v_mul_f32_e32 v222, v39, v222                              // 00000001E82C: 0BBDBD27
	v_mul_f32_e32 v223, v39, v223                              // 00000001E830: 0BBFBF27
	v_mov_b32_e32 v19, 0xffff0000                              // 00000001E834: 7E2602FF FFFF0000
	v_mov_b32_e32 v20, 0x7fff0000                              // 00000001E83C: 7E2802FF 7FFF0000
	v_mov_b32_e32 v21, 0x7fff                                  // 00000001E844: 7E2A02FF 00007FFF
	v_cvt_pkrtz_f16_f32 v64, v216, v217                        // 00000001E84C: D2960040 0003B3D8
	v_mov_b32_e32 v216, v64                                    // 00000001E854: 7FB00340
	v_cvt_pkrtz_f16_f32 v64, v218, v219                        // 00000001E858: D2960040 0003B7DA
	v_mov_b32_e32 v217, v64                                    // 00000001E860: 7FB20340
	v_cvt_pkrtz_f16_f32 v64, v220, v221                        // 00000001E864: D2960040 0003BBDC
	v_mov_b32_e32 v218, v64                                    // 00000001E86C: 7FB40340
	v_cvt_pkrtz_f16_f32 v64, v222, v223                        // 00000001E870: D2960040 0003BFDE
	v_mov_b32_e32 v219, v64                                    // 00000001E878: 7FB60340
	s_nop 1                                                    // 00000001E87C: BF800001
	v_lshrrev_b32_e32 v64, 4, v0                               // 00000001E880: 20800084
	v_mul_i32_i24_e32 v68, 34, v64                             // 00000001E884: 0C8880A2
	v_and_b32_e32 v64, 15, v0                                  // 00000001E888: 2680008F
	v_mul_i32_i24_e32 v65, 2, v64                              // 00000001E88C: 0C828082
	v_add_u32_e32 v68, v65, v68                                // 00000001E890: 68888941
	s_mul_i32 s60, s7, 0x88                                    // 00000001E894: 923CFF07 00000088
	v_add_u32_e32 v68, s60, v68                                // 00000001E89C: 6888883C
	v_lshlrev_b32_e32 v68, 2, v68                              // 00000001E8A0: 24888882
	ds_write_b64 v68, v[216:217] offset:41472                  // 00000001E8A4: D89AA200 0000D844
	ds_write_b64 v68, v[218:219] offset:43648                  // 00000001E8AC: D89AAA80 0000DA44
	v_lshrrev_b32_e32 v64, 1, v0                               // 00000001E8B4: 20800081
	v_mul_i32_i24_e32 v68, 34, v64                             // 00000001E8B8: 0C8880A2
	v_and_b32_e32 v65, 1, v0                                   // 00000001E8BC: 26820081
	v_add_u32_e32 v68, v65, v68                                // 00000001E8C0: 68888941
	s_mul_i32 s60, s7, 2                                       // 00000001E8C4: 923C8207
	v_add_u32_e32 v68, s60, v68                                // 00000001E8C8: 6888883C
	v_lshlrev_b32_e32 v68, 2, v68                              // 00000001E8CC: 24888882
	s_waitcnt lgkmcnt(0)                                       // 00000001E8D0: BF8CC07F
	s_barrier                                                  // 00000001E8D4: BF8A0000
	ds_read_b32 v216, v68 offset:41472                         // 00000001E8D8: D86CA200 D8000044
	ds_read_b32 v217, v68 offset:41504                         // 00000001E8E0: D86CA220 D9000044
	ds_read_b32 v218, v68 offset:41536                         // 00000001E8E8: D86CA240 DA000044
	ds_read_b32 v219, v68 offset:41568                         // 00000001E8F0: D86CA260 DB000044
	s_mul_i32 s60, s7, 0x100                                   // 00000001E8F8: 923CFF07 00000100
	v_lshlrev_b32_e32 v64, 2, v0                               // 00000001E900: 24800082
	v_add_u32_e64 v64, v64, s60                                // 00000001E904: D1340040 00007940
	s_waitcnt lgkmcnt(0)                                       // 00000001E90C: BF8CC07F
	buffer_store_dword v216, v64, s[8:11], 0 offen             // 00000001E910: E0701000 8002D840
	buffer_store_dword v217, v64, s[8:11], 0 offen offset:1024 // 00000001E918: E0701400 8002D940
	buffer_store_dword v218, v64, s[8:11], 0 offen offset:2048 // 00000001E920: E0701800 8002DA40
	buffer_store_dword v219, v64, s[8:11], 0 offen offset:3072 // 00000001E928: E0701C00 8002DB40
	s_add_u32 s8, s75, s8                                      // 00000001E930: 8008084B
	s_addc_u32 s9, 0, s9                                       // 00000001E934: 82090980
	v_mul_f32_e32 v224, v51, v224                              // 00000001E938: 0BC1C133
	v_mul_f32_e32 v225, v51, v225                              // 00000001E93C: 0BC3C333
	v_mul_f32_e32 v226, v51, v226                              // 00000001E940: 0BC5C533
	v_mul_f32_e32 v227, v51, v227                              // 00000001E944: 0BC7C733
	v_mul_f32_e32 v228, v51, v228                              // 00000001E948: 0BC9C933
	v_mul_f32_e32 v229, v51, v229                              // 00000001E94C: 0BCBCB33
	v_mul_f32_e32 v230, v51, v230                              // 00000001E950: 0BCDCD33
	v_mul_f32_e32 v231, v51, v231                              // 00000001E954: 0BCFCF33
	v_cvt_f32_i32_e32 v192, v192                               // 00000001E958: 7F800BC0
	v_cvt_f32_i32_e32 v193, v193                               // 00000001E95C: 7F820BC1
	v_cvt_f32_i32_e32 v194, v194                               // 00000001E960: 7F840BC2
	v_cvt_f32_i32_e32 v195, v195                               // 00000001E964: 7F860BC3
	v_cvt_f32_i32_e32 v196, v196                               // 00000001E968: 7F880BC4
	v_cvt_f32_i32_e32 v197, v197                               // 00000001E96C: 7F8A0BC5
	v_cvt_f32_i32_e32 v198, v198                               // 00000001E970: 7F8C0BC6
	v_cvt_f32_i32_e32 v199, v199                               // 00000001E974: 7F8E0BC7
	v_mul_f32_e32 v192, v46, v192                              // 00000001E978: 0B81812E
	v_mul_f32_e32 v193, v46, v193                              // 00000001E97C: 0B83832E
	v_mul_f32_e32 v194, v46, v194                              // 00000001E980: 0B85852E
	v_mul_f32_e32 v195, v46, v195                              // 00000001E984: 0B87872E
	v_mul_f32_e32 v196, v46, v196                              // 00000001E988: 0B89892E
	v_mul_f32_e32 v197, v46, v197                              // 00000001E98C: 0B8B8B2E
	v_mul_f32_e32 v198, v46, v198                              // 00000001E990: 0B8D8D2E
	v_mul_f32_e32 v199, v46, v199                              // 00000001E994: 0B8F8F2E
	v_add_f32_e32 v224, v224, v192                             // 00000001E998: 03C181E0
	v_add_f32_e32 v225, v225, v193                             // 00000001E99C: 03C383E1
	v_add_f32_e32 v226, v226, v194                             // 00000001E9A0: 03C585E2
	v_add_f32_e32 v227, v227, v195                             // 00000001E9A4: 03C787E3
	v_add_f32_e32 v228, v228, v196                             // 00000001E9A8: 03C989E4
	v_add_f32_e32 v229, v229, v197                             // 00000001E9AC: 03CB8BE5
	v_add_f32_e32 v230, v230, v198                             // 00000001E9B0: 03CD8DE6
	v_add_f32_e32 v231, v231, v199                             // 00000001E9B4: 03CF8FE7
	ds_write_b32 v8, v40 offset:16896                          // 00000001E9B8: D81A4200 00002808
	s_waitcnt lgkmcnt(0)                                       // 00000001E9C0: BF8CC07F
	s_barrier                                                  // 00000001E9C4: BF8A0000
	ds_read_b32 v64, v7 offset:16896                           // 00000001E9C8: D86C4200 40000007
	ds_read_b32 v65, v7 offset:16960                           // 00000001E9D0: D86C4240 41000007
	ds_read_b32 v66, v7 offset:17024                           // 00000001E9D8: D86C4280 42000007
	ds_read_b32 v67, v7 offset:17088                           // 00000001E9E0: D86C42C0 43000007
	ds_read_b32 v68, v7 offset:17152                           // 00000001E9E8: D86C4300 44000007
	ds_read_b32 v69, v7 offset:17216                           // 00000001E9F0: D86C4340 45000007
	ds_read_b32 v70, v7 offset:17280                           // 00000001E9F8: D86C4380 46000007
	ds_read_b32 v71, v7 offset:17344                           // 00000001EA00: D86C43C0 47000007
	ds_read_b32 v72, v7 offset:17408                           // 00000001EA08: D86C4400 48000007
	ds_read_b32 v73, v7 offset:17472                           // 00000001EA10: D86C4440 49000007
	ds_read_b32 v74, v7 offset:17536                           // 00000001EA18: D86C4480 4A000007
	ds_read_b32 v75, v7 offset:17600                           // 00000001EA20: D86C44C0 4B000007
	ds_read_b32 v76, v7 offset:17664                           // 00000001EA28: D86C4500 4C000007
	ds_read_b32 v77, v7 offset:17728                           // 00000001EA30: D86C4540 4D000007
	ds_read_b32 v78, v7 offset:17792                           // 00000001EA38: D86C4580 4E000007
	ds_read_b32 v79, v7 offset:17856                           // 00000001EA40: D86C45C0 4F000007
	s_waitcnt lgkmcnt(0)                                       // 00000001EA48: BF8CC07F
	v_mov_b32_e32 v40, 0                                       // 00000001EA4C: 7E500280
	v_add_f32_e32 v40, v64, v40                                // 00000001EA50: 02505140
	v_add_f32_e32 v40, v65, v40                                // 00000001EA54: 02505141
	v_add_f32_e32 v40, v66, v40                                // 00000001EA58: 02505142
	v_add_f32_e32 v40, v67, v40                                // 00000001EA5C: 02505143
	v_add_f32_e32 v40, v68, v40                                // 00000001EA60: 02505144
	v_add_f32_e32 v40, v69, v40                                // 00000001EA64: 02505145
	v_add_f32_e32 v40, v70, v40                                // 00000001EA68: 02505146
	v_add_f32_e32 v40, v71, v40                                // 00000001EA6C: 02505147
	v_add_f32_e32 v40, v72, v40                                // 00000001EA70: 02505148
	v_add_f32_e32 v40, v73, v40                                // 00000001EA74: 02505149
	v_add_f32_e32 v40, v74, v40                                // 00000001EA78: 0250514A
	v_add_f32_e32 v40, v75, v40                                // 00000001EA7C: 0250514B
	v_add_f32_e32 v40, v76, v40                                // 00000001EA80: 0250514C
	v_add_f32_e32 v40, v77, v40                                // 00000001EA84: 0250514D
	v_add_f32_e32 v40, v78, v40                                // 00000001EA88: 0250514E
	v_add_f32_e32 v40, v79, v40                                // 00000001EA8C: 0250514F
	s_nop 1                                                    // 00000001EA90: BF800001
	v_rcp_f32_e32 v40, v40                                     // 00000001EA94: 7E504528
	s_nop 1                                                    // 00000001EA98: BF800001
	v_mul_f32_e32 v224, v40, v224                              // 00000001EA9C: 0BC1C128
	v_mul_f32_e32 v225, v40, v225                              // 00000001EAA0: 0BC3C328
	v_mul_f32_e32 v226, v40, v226                              // 00000001EAA4: 0BC5C528
	v_mul_f32_e32 v227, v40, v227                              // 00000001EAA8: 0BC7C728
	v_mul_f32_e32 v228, v40, v228                              // 00000001EAAC: 0BC9C928
	v_mul_f32_e32 v229, v40, v229                              // 00000001EAB0: 0BCBCB28
	v_mul_f32_e32 v230, v40, v230                              // 00000001EAB4: 0BCDCD28
	v_mul_f32_e32 v231, v40, v231                              // 00000001EAB8: 0BCFCF28
	v_mov_b32_e32 v19, 0xffff0000                              // 00000001EABC: 7E2602FF FFFF0000
	v_mov_b32_e32 v20, 0x7fff0000                              // 00000001EAC4: 7E2802FF 7FFF0000
	v_mov_b32_e32 v21, 0x7fff                                  // 00000001EACC: 7E2A02FF 00007FFF
	v_cvt_pkrtz_f16_f32 v64, v224, v225                        // 00000001EAD4: D2960040 0003C3E0
	v_mov_b32_e32 v224, v64                                    // 00000001EADC: 7FC00340
	v_cvt_pkrtz_f16_f32 v64, v226, v227                        // 00000001EAE0: D2960040 0003C7E2
	v_mov_b32_e32 v225, v64                                    // 00000001EAE8: 7FC20340
	v_cvt_pkrtz_f16_f32 v64, v228, v229                        // 00000001EAEC: D2960040 0003CBE4
	v_mov_b32_e32 v226, v64                                    // 00000001EAF4: 7FC40340
	v_cvt_pkrtz_f16_f32 v64, v230, v231                        // 00000001EAF8: D2960040 0003CFE6
	v_mov_b32_e32 v227, v64                                    // 00000001EB00: 7FC60340
	s_nop 1                                                    // 00000001EB04: BF800001
	v_lshrrev_b32_e32 v64, 4, v0                               // 00000001EB08: 20800084
	v_mul_i32_i24_e32 v68, 34, v64                             // 00000001EB0C: 0C8880A2
	v_and_b32_e32 v64, 15, v0                                  // 00000001EB10: 2680008F
	v_mul_i32_i24_e32 v65, 2, v64                              // 00000001EB14: 0C828082
	v_add_u32_e32 v68, v65, v68                                // 00000001EB18: 68888941
	s_mul_i32 s60, s7, 0x88                                    // 00000001EB1C: 923CFF07 00000088
	v_add_u32_e32 v68, s60, v68                                // 00000001EB24: 6888883C
	v_lshlrev_b32_e32 v68, 2, v68                              // 00000001EB28: 24888882
	ds_write_b64 v68, v[224:225] offset:41472                  // 00000001EB2C: D89AA200 0000E044
	ds_write_b64 v68, v[226:227] offset:43648                  // 00000001EB34: D89AAA80 0000E244
	v_lshrrev_b32_e32 v64, 1, v0                               // 00000001EB3C: 20800081
	v_mul_i32_i24_e32 v68, 34, v64                             // 00000001EB40: 0C8880A2
	v_and_b32_e32 v65, 1, v0                                   // 00000001EB44: 26820081
	v_add_u32_e32 v68, v65, v68                                // 00000001EB48: 68888941
	s_mul_i32 s60, s7, 2                                       // 00000001EB4C: 923C8207
	v_add_u32_e32 v68, s60, v68                                // 00000001EB50: 6888883C
	v_lshlrev_b32_e32 v68, 2, v68                              // 00000001EB54: 24888882
	s_waitcnt lgkmcnt(0)                                       // 00000001EB58: BF8CC07F
	s_barrier                                                  // 00000001EB5C: BF8A0000
	ds_read_b32 v224, v68 offset:41472                         // 00000001EB60: D86CA200 E0000044
	ds_read_b32 v225, v68 offset:41504                         // 00000001EB68: D86CA220 E1000044
	ds_read_b32 v226, v68 offset:41536                         // 00000001EB70: D86CA240 E2000044
	ds_read_b32 v227, v68 offset:41568                         // 00000001EB78: D86CA260 E3000044
	s_mul_i32 s60, s7, 0x100                                   // 00000001EB80: 923CFF07 00000100
	v_lshlrev_b32_e32 v64, 2, v0                               // 00000001EB88: 24800082
	v_add_u32_e64 v64, v64, s60                                // 00000001EB8C: D1340040 00007940
	s_waitcnt lgkmcnt(0)                                       // 00000001EB94: BF8CC07F
	buffer_store_dword v224, v64, s[8:11], 0 offen             // 00000001EB98: E0701000 8002E040
	buffer_store_dword v225, v64, s[8:11], 0 offen offset:1024 // 00000001EBA0: E0701400 8002E140
	buffer_store_dword v226, v64, s[8:11], 0 offen offset:2048 // 00000001EBA8: E0701800 8002E240
	buffer_store_dword v227, v64, s[8:11], 0 offen offset:3072 // 00000001EBB0: E0701C00 8002E340
	s_add_u32 s8, s75, s8                                      // 00000001EBB8: 8008084B
	s_addc_u32 s9, 0, s9                                       // 00000001EBBC: 82090980

000000000001ebc0 <label_7270>:
	s_branch label_BBF3                                        // 00000001EBC0: BF824982

000000000001ebc4 <label_7271>:
	s_mul_i32 s60, s3, s65                                     // 00000001EBC4: 923C4103
	s_mul_i32 s60, s60, 4                                      // 00000001EBC8: 923C843C
	s_add_u32 s24, s60, s24                                    // 00000001EBCC: 8018183C
	s_addc_u32 s25, 0, s25                                     // 00000001EBD0: 82191980
	s_mov_b32 s56, 64                                          // 00000001EBD4: BEB800C0
	s_add_u32 s73, s72, 15                                     // 00000001EBD8: 80498F48
	s_lshr_b32 s73, s73, 4                                     // 00000001EBDC: 8F498449
	s_mul_i32 s60, s73, 4                                      // 00000001EBE0: 923C8449
	s_mov_b32 s26, s60                                         // 00000001EBE4: BE9A003C
	s_sub_u32 s89, s72, s86                                    // 00000001EBE8: 80D95648
	s_mov_b32 s90, 0xff                                        // 00000001EBEC: BEDA00FF 000000FF
	s_mov_b32 s91, 0x100                                       // 00000001EBF4: BEDB00FF 00000100
	v_and_b32_e32 v65, 3, v0                                   // 00000001EBFC: 26820083
	v_cmp_eq_u32_e64 s[60:61], 0, v65                          // 00000001EC00: D0CA003C 00028280
	v_and_b32_e32 v64, 12, v0                                  // 00000001EC08: 2680008C
	v_add_u32_e32 v1, s7, v64                                  // 00000001EC0C: 68028007
	v_cndmask_b32_e64 v1, 0, v1, s[60:61]                      // 00000001EC10: D1000001 00F20280
	v_and_b32_e32 v65, 3, v0                                   // 00000001EC18: 26820083
	v_cmp_eq_u32_e64 s[60:61], 1, v65                          // 00000001EC1C: D0CA003C 00028281
	v_lshrrev_b32_e32 v64, 4, v0                               // 00000001EC24: 20800084
	v_and_b32_e32 v65, 12, v0                                  // 00000001EC28: 2682008C
	v_add_u32_e32 v64, v65, v64                                // 00000001EC2C: 68808141
	v_cndmask_b32_e64 v64, 0, v64, s[60:61]                    // 00000001EC30: D1000040 00F28080
	v_add_u32_e32 v1, v1, v64                                  // 00000001EC38: 68028101
	v_lshlrev_b32_e32 v1, 2, v1                                // 00000001EC3C: 24020282
	buffer_load_dword v16, v1, s[24:27], 0 offen               // 00000001EC40: E0501000 80061001
	v_add_u32_e32 v1, s56, v1                                  // 00000001EC48: 68020238
	buffer_load_dword v17, v1, s[24:27], 0 offen               // 00000001EC4C: E0501000 80061101
	s_cmp_le_u32 s73, 32                                       // 00000001EC54: BF0BA049
	s_cselect_b32 s56, 0, s56                                  // 00000001EC58: 85383880
	s_mul_i32 s60, s2, s67                                     // 00000001EC5C: 923C4302
	s_mul_i32 s61, s84, s74                                    // 00000001EC60: 923D4A54
	s_add_u32 s60, s60, s61                                    // 00000001EC64: 803C3D3C
	s_add_u32 s12, s60, s12                                    // 00000001EC68: 800C0C3C
	s_addc_u32 s13, 0, s13                                     // 00000001EC6C: 820D0D80
	s_mul_i32 s60, s7, 0x108                                   // 00000001EC70: 923CFF07 00000108
	s_add_u32 m0, 0, s60                                       // 00000001EC78: 807C3C80
	s_mul_i32 s60, s7, 0x100                                   // 00000001EC7C: 923CFF07 00000100
	v_lshlrev_b32_e32 v64, 2, v0                               // 00000001EC84: 24800082
	v_add_u32_e64 v64, v64, s60                                // 00000001EC88: D1340040 00007940
	v_add_u32_e32 v65, 0x400, v64                              // 00000001EC90: 688280FF 00000400
	v_add_u32_e32 v66, 0x800, v64                              // 00000001EC98: 688480FF 00000800
	v_add_u32_e32 v67, 0xc00, v64                              // 00000001ECA0: 688680FF 00000C00
	buffer_load_dword v64, s[12:15], 0 offen lds               // 00000001ECA8: E0511000 80030040
	s_mul_i32 s60, 4, 0x108                                    // 00000001ECB0: 923CFF84 00000108
	s_add_u32 m0, m0, s60                                      // 00000001ECB8: 807C3C7C
	buffer_load_dword v65, s[12:15], 0 offen lds               // 00000001ECBC: E0511000 80030041
	s_mul_i32 s60, 4, 0x108                                    // 00000001ECC4: 923CFF84 00000108
	s_add_u32 m0, m0, s60                                      // 00000001ECCC: 807C3C7C
	buffer_load_dword v66, s[12:15], 0 offen lds               // 00000001ECD0: E0511000 80030042
	s_mul_i32 s60, 4, 0x108                                    // 00000001ECD8: 923CFF84 00000108
	s_add_u32 m0, m0, s60                                      // 00000001ECE0: 807C3C7C
	buffer_load_dword v67, s[12:15], 0 offen lds               // 00000001ECE4: E0511000 80030043
	s_mul_i32 s60, 4, 0x108                                    // 00000001ECEC: 923CFF84 00000108
	s_add_u32 m0, m0, s60                                      // 00000001ECF4: 807C3C7C
	s_add_u32 s12, s74, s12                                    // 00000001ECF8: 800C0C4A
	s_addc_u32 s13, 0, s13                                     // 00000001ECFC: 820D0D80
	buffer_load_dword v64, s[12:15], 0 offen lds               // 00000001ED00: E0511000 80030040
	s_mul_i32 s60, 4, 0x108                                    // 00000001ED08: 923CFF84 00000108
	s_add_u32 m0, m0, s60                                      // 00000001ED10: 807C3C7C
	buffer_load_dword v65, s[12:15], 0 offen lds               // 00000001ED14: E0511000 80030041
	s_mul_i32 s60, 4, 0x108                                    // 00000001ED1C: 923CFF84 00000108
	s_add_u32 m0, m0, s60                                      // 00000001ED24: 807C3C7C
	buffer_load_dword v66, s[12:15], 0 offen lds               // 00000001ED28: E0511000 80030042
	s_mul_i32 s60, 4, 0x108                                    // 00000001ED30: 923CFF84 00000108
	s_add_u32 m0, m0, s60                                      // 00000001ED38: 807C3C7C
	buffer_load_dword v67, s[12:15], 0 offen lds               // 00000001ED3C: E0511000 80030043
	s_mul_i32 s60, 4, 0x108                                    // 00000001ED44: 923CFF84 00000108
	s_add_u32 m0, m0, s60                                      // 00000001ED4C: 807C3C7C
	s_add_u32 s12, s74, s12                                    // 00000001ED50: 800C0C4A
	s_addc_u32 s13, 0, s13                                     // 00000001ED54: 820D0D80
	buffer_load_dword v64, s[12:15], 0 offen lds               // 00000001ED58: E0511000 80030040
	s_mul_i32 s60, 4, 0x108                                    // 00000001ED60: 923CFF84 00000108
	s_add_u32 m0, m0, s60                                      // 00000001ED68: 807C3C7C
	buffer_load_dword v65, s[12:15], 0 offen lds               // 00000001ED6C: E0511000 80030041
	s_mul_i32 s60, 4, 0x108                                    // 00000001ED74: 923CFF84 00000108
	s_add_u32 m0, m0, s60                                      // 00000001ED7C: 807C3C7C
	buffer_load_dword v66, s[12:15], 0 offen lds               // 00000001ED80: E0511000 80030042
	s_mul_i32 s60, 4, 0x108                                    // 00000001ED88: 923CFF84 00000108
	s_add_u32 m0, m0, s60                                      // 00000001ED90: 807C3C7C
	buffer_load_dword v67, s[12:15], 0 offen lds               // 00000001ED94: E0511000 80030043
	s_mul_i32 s60, 4, 0x108                                    // 00000001ED9C: 923CFF84 00000108
	s_add_u32 m0, m0, s60                                      // 00000001EDA4: 807C3C7C
	s_add_u32 s12, s74, s12                                    // 00000001EDA8: 800C0C4A
	s_addc_u32 s13, 0, s13                                     // 00000001EDAC: 820D0D80
	buffer_load_dword v64, s[12:15], 0 offen lds               // 00000001EDB0: E0511000 80030040
	s_mul_i32 s60, 4, 0x108                                    // 00000001EDB8: 923CFF84 00000108
	s_add_u32 m0, m0, s60                                      // 00000001EDC0: 807C3C7C
	buffer_load_dword v65, s[12:15], 0 offen lds               // 00000001EDC4: E0511000 80030041
	s_mul_i32 s60, 4, 0x108                                    // 00000001EDCC: 923CFF84 00000108
	s_add_u32 m0, m0, s60                                      // 00000001EDD4: 807C3C7C
	buffer_load_dword v66, s[12:15], 0 offen lds               // 00000001EDD8: E0511000 80030042
	s_mul_i32 s60, 4, 0x108                                    // 00000001EDE0: 923CFF84 00000108
	s_add_u32 m0, m0, s60                                      // 00000001EDE8: 807C3C7C
	buffer_load_dword v67, s[12:15], 0 offen lds               // 00000001EDEC: E0511000 80030043
	s_mul_i32 s60, 4, 0x108                                    // 00000001EDF4: 923CFF84 00000108
	s_add_u32 m0, m0, s60                                      // 00000001EDFC: 807C3C7C
	s_add_u32 s12, s74, s12                                    // 00000001EE00: 800C0C4A
	s_addc_u32 s13, 0, s13                                     // 00000001EE04: 820D0D80
	v_lshrrev_b32_e32 v64, 4, v0                               // 00000001EE08: 20800084
	v_lshlrev_b32_e32 v64, 2, v64                              // 00000001EE0C: 24808082
	v_and_b32_e32 v65, 3, v0                                   // 00000001EE10: 26820083
	v_add_u32_e32 v64, v65, v64                                // 00000001EE14: 68808141
	v_lshlrev_b32_e32 v59, 2, v64                              // 00000001EE18: 24768082
	v_mov_b32_e32 v60, v59                                     // 00000001EE1C: 7E78033B
	s_mul_i32 s60, s2, 64                                      // 00000001EE20: 923CC002
	s_add_u32 s32, s60, s32                                    // 00000001EE24: 8020203C
	s_addc_u32 s33, 0, s33                                     // 00000001EE28: 82212180
	s_add_u32 s36, s60, s36                                    // 00000001EE2C: 8024243C
	s_addc_u32 s37, 0, s37                                     // 00000001EE30: 82252580
	s_mul_i32 s60, s2, s76                                     // 00000001EE34: 923C4C02
	s_mul_i32 s61, s84, s75                                    // 00000001EE38: 923D4B54
	s_add_u32 s60, s60, s61                                    // 00000001EE3C: 803C3D3C
	s_add_u32 s8, s60, s8                                      // 00000001EE40: 8008083C
	s_addc_u32 s9, 0, s9                                       // 00000001EE44: 82090980
	s_mov_b32 s70, 0                                           // 00000001EE48: BEC60080
	s_and_b32 s71, s72, 0xffffff00                             // 00000001EE4C: 8647FF48 FFFFFF00
	s_mov_b32 s42, 0xff00ff00                                  // 00000001EE54: BEAA00FF FF00FF00
	s_mov_b32 s43, 0xff00ff00                                  // 00000001EE5C: BEAB00FF FF00FF00
	s_mov_b32 s44, 0xf0f0f0f0                                  // 00000001EE64: BEAC00FF F0F0F0F0
	s_mov_b32 s45, 0xf0f0f0f0                                  // 00000001EE6C: BEAD00FF F0F0F0F0
	s_mov_b32 s78, 0xff00ff                                    // 00000001EE74: BECE00FF 00FF00FF
	s_mov_b32 s79, 0xff00ff                                    // 00000001EE7C: BECF00FF 00FF00FF
	v_mul_i32_i24_e64 v63, 64, s66                             // 00000001EE84: D106003F 000084C0
	v_mov_b32_e32 v54, s68                                     // 00000001EE8C: 7E6C0244
	s_mov_b32 s52, 0x7060302                                   // 00000001EE90: BEB400FF 07060302
	s_mov_b32 s53, 0x400                                       // 00000001EE98: BEB500FF 00000400
	s_mov_b32 s54, 0x40100                                     // 00000001EEA0: BEB600FF 00040100
	s_mov_b32 s55, 0x4020100                                   // 00000001EEA8: BEB700FF 04020100
	s_mov_b32 s6, 0x3fb8aa3b                                   // 00000001EEB0: BE8600FF 3FB8AA3B
	v_mov_b32_e32 v11, 0xff800000                              // 00000001EEB8: 7E1602FF FF800000
	v_mov_b32_e32 v12, 0xff800000                              // 00000001EEC0: 7E1802FF FF800000
	v_mov_b32_e32 v49, 0                                       // 00000001EEC8: 7E620280
	v_mov_b32_e32 v50, 0                                       // 00000001EECC: 7E640280
	v_mov_b32_e32 v51, 0                                       // 00000001EED0: 7E660280
	v_mov_b32_e32 v52, 0                                       // 00000001EED4: 7E680280
	v_mov_b32_e32 v38, 0                                       // 00000001EED8: 7E4C0280
	v_mov_b32_e32 v39, 0                                       // 00000001EEDC: 7E4E0280
	v_mov_b32_e32 v40, 0                                       // 00000001EEE0: 7E500280
	v_mov_b32_e32 v41, 0                                       // 00000001EEE4: 7E520280
	v_mov_b32_e32 v44, 0                                       // 00000001EEE8: 7E580280
	v_mov_b32_e32 v45, 0                                       // 00000001EEEC: 7E5A0280
	v_mov_b32_e32 v46, 0                                       // 00000001EEF0: 7E5C0280
	v_mov_b32_e32 v47, 0                                       // 00000001EEF4: 7E5E0280
	v_add_u32_e32 v1, s56, v1                                  // 00000001EEF8: 68020238
	v_and_b32_e32 v7, 15, v0                                   // 00000001EEFC: 260E008F
	v_lshlrev_b32_e32 v7, 2, v7                                // 00000001EF00: 240E0E82
	v_lshlrev_b32_e32 v8, 2, v0                                // 00000001EF04: 24100082
	s_mul_i32 s60, 0x100, s7                                   // 00000001EF08: 923C07FF 00000100
	v_add_u32_e32 v8, s60, v8                                  // 00000001EF10: 6810103C
	v_lshrrev_b32_e32 v64, 4, v0                               // 00000001EF14: 20800084
	v_lshlrev_b32_e32 v65, 6, v64                              // 00000001EF18: 24828086
	v_and_b32_e32 v64, 15, v0                                  // 00000001EF1C: 2680008F
	v_lshlrev_b32_e32 v64, 1, v64                              // 00000001EF20: 24808081
	v_add_u32_e32 v65, v64, v65                                // 00000001EF24: 68828340
	v_lshlrev_b32_e32 v9, 2, v65                               // 00000001EF28: 24128282
	v_lshrrev_b32_e32 v64, 5, v0                               // 00000001EF2C: 20800085
	v_lshlrev_b32_e32 v65, 5, v64                              // 00000001EF30: 24828085
	v_and_b32_e32 v64, 31, v0                                  // 00000001EF34: 2680009F
	v_lshrrev_b32_e32 v66, 4, v64                              // 00000001EF38: 20848084
	v_add_u32_e32 v65, v66, v65                                // 00000001EF3C: 68828342
	v_and_b32_e32 v64, 15, v0                                  // 00000001EF40: 2680008F
	v_lshlrev_b32_e32 v64, 1, v64                              // 00000001EF44: 24808081
	v_add_u32_e32 v65, v64, v65                                // 00000001EF48: 68828340
	v_lshlrev_b32_e32 v64, 2, v65                              // 00000001EF4C: 24808282
	s_mul_i32 s60, 0x100, s7                                   // 00000001EF50: 923C07FF 00000100
	v_add_u32_e64 v10, v64, s60                                // 00000001EF58: D134000A 00007940
	v_lshlrev_b32_e32 v5, 4, v0                                // 00000001EF60: 240A0084
	s_mul_i32 s60, s2, s69                                     // 00000001EF64: 923C4502
	s_add_u32 s16, s60, s16                                    // 00000001EF68: 8010103C
	s_addc_u32 s17, 0, s17                                     // 00000001EF6C: 82111180
	v_and_b32_e32 v64, 15, v0                                  // 00000001EF70: 2680008F
	v_lshlrev_b32_e32 v6, 4, v64                               // 00000001EF74: 240C8084
	s_mul_i32 s61, s2, s69                                     // 00000001EF78: 923D4502
	s_mul_i32 s60, s7, 0x100                                   // 00000001EF7C: 923CFF07 00000100
	s_add_u32 s60, s60, s61                                    // 00000001EF84: 803C3D3C
	s_add_u32 s20, s60, s20                                    // 00000001EF88: 8014143C
	s_addc_u32 s21, 0, s21                                     // 00000001EF8C: 82151580
	s_waitcnt vmcnt(4)                                         // 00000001EF90: BF8C0F74
	v_mul_u32_u24_dpp v64, v16, v54 row_newbcast:0 row_mask:0xf bank_mask:0xf// 00000001EF94: 10806CFA FF015010
	v_mul_u32_u24_dpp v65, v16, v54 row_newbcast:4 row_mask:0xf bank_mask:0xf// 00000001EF9C: 10826CFA FF015410
	v_mul_u32_u24_dpp v66, v16, v54 row_newbcast:8 row_mask:0xf bank_mask:0xf// 00000001EFA4: 10846CFA FF015810
	v_mul_u32_u24_dpp v67, v16, v54 row_newbcast:12 row_mask:0xf bank_mask:0xf// 00000001EFAC: 10866CFA FF015C10
	v_add_u32_e32 v22, v64, v5                                 // 00000001EFB4: 682C0B40
	v_add_u32_e32 v23, v65, v5                                 // 00000001EFB8: 682E0B41
	v_add_u32_e32 v24, v66, v5                                 // 00000001EFBC: 68300B42
	v_add_u32_e32 v25, v67, v5                                 // 00000001EFC0: 68320B43
	v_mul_u32_u24_dpp v64, v16, v54 row_newbcast:1 row_mask:0xf bank_mask:0xf// 00000001EFC4: 10806CFA FF015110
	v_mul_u32_u24_dpp v65, v16, v54 row_newbcast:5 row_mask:0xf bank_mask:0xf// 00000001EFCC: 10826CFA FF015510
	v_mul_u32_u24_dpp v66, v16, v54 row_newbcast:9 row_mask:0xf bank_mask:0xf// 00000001EFD4: 10846CFA FF015910
	v_mul_u32_u24_dpp v67, v16, v54 row_newbcast:13 row_mask:0xf bank_mask:0xf// 00000001EFDC: 10866CFA FF015D10
	v_add_u32_e32 v30, v64, v6                                 // 00000001EFE4: 683C0D40
	v_add_u32_e32 v31, v65, v6                                 // 00000001EFE8: 683E0D41
	v_add_u32_e32 v32, v66, v6                                 // 00000001EFEC: 68400D42
	v_add_u32_e32 v33, v67, v6                                 // 00000001EFF0: 68420D43
	v_mul_u32_u24_dpp v64, v16, v63 quad_perm:[0,0,0,0] row_mask:0xf bank_mask:0xf// 00000001EFF4: 10807EFA FF000010
	v_add_u32_e32 v2, v64, v59                                 // 00000001EFFC: 68047740
	v_mul_u32_u24_dpp v64, v16, v63 quad_perm:[0,0,0,0] row_mask:0xf bank_mask:0xf// 00000001F000: 10807EFA FF000010
	v_add_u32_e32 v55, v64, v60                                // 00000001F008: 686E7940
	buffer_load_dword v42, v2, s[32:35], 0 offen               // 00000001F00C: E0501000 80082A02
	buffer_load_dwordx4 a[0:3], v22, s[16:19], 0 offen         // 00000001F014: E05C1000 80840016
	buffer_load_dwordx4 a[4:7], v22, s[16:19], 0 offen offset:1024// 00000001F01C: E05C1400 80840416
	buffer_load_dwordx4 a[8:11], v23, s[16:19], 0 offen        // 00000001F024: E05C1000 80840817
	buffer_load_dwordx4 a[12:15], v23, s[16:19], 0 offen offset:1024// 00000001F02C: E05C1400 80840C17
	buffer_load_dwordx4 a[16:19], v24, s[16:19], 0 offen       // 00000001F034: E05C1000 80841018
	buffer_load_dwordx4 a[20:23], v24, s[16:19], 0 offen offset:1024// 00000001F03C: E05C1400 80841418
	buffer_load_dwordx4 a[24:27], v25, s[16:19], 0 offen       // 00000001F044: E05C1000 80841819
	buffer_load_dwordx4 a[28:31], v25, s[16:19], 0 offen offset:1024// 00000001F04C: E05C1400 80841C19
	buffer_load_dword v57, v55, s[36:39], 0 offen              // 00000001F054: E0501000 80093937
	buffer_load_dwordx4 a[64:67], v30, s[20:23], 0 offen       // 00000001F05C: E05C1000 8085401E
	buffer_load_dwordx4 a[68:71], v31, s[20:23], 0 offen       // 00000001F064: E05C1000 8085441F
	buffer_load_dwordx4 a[72:75], v32, s[20:23], 0 offen       // 00000001F06C: E05C1000 80854820
	buffer_load_dwordx4 a[76:79], v33, s[20:23], 0 offen       // 00000001F074: E05C1000 80854C21
	buffer_load_dwordx4 a[80:83], v30, s[20:23], 0 offen offset:1024// 00000001F07C: E05C1400 8085501E
	buffer_load_dwordx4 a[84:87], v31, s[20:23], 0 offen offset:1024// 00000001F084: E05C1400 8085541F
	buffer_load_dwordx4 a[88:91], v32, s[20:23], 0 offen offset:1024// 00000001F08C: E05C1400 80855820
	buffer_load_dwordx4 a[92:95], v33, s[20:23], 0 offen offset:1024// 00000001F094: E05C1400 80855C21
	v_lshrrev_b32_e32 v64, 4, v0                               // 00000001F09C: 20800084
	v_lshlrev_b32_e32 v65, 1, v64                              // 00000001F0A0: 24828081
	v_and_b32_e32 v64, 15, v0                                  // 00000001F0A4: 2680008F
	v_mul_i32_i24_e32 v64, 0x42, v64                           // 00000001F0A8: 0C8080FF 00000042
	v_add_u32_e32 v65, v64, v65                                // 00000001F0B0: 68828340
	v_lshlrev_b32_e32 v4, 2, v65                               // 00000001F0B4: 24088282
	s_mul_i32 s60, s7, 32                                      // 00000001F0B8: 923CA007
	v_add_u32_e32 v4, s60, v4                                  // 00000001F0BC: 6808083C
	s_waitcnt vmcnt(16) lgkmcnt(0)                             // 00000001F0C0: BF8C4070
	s_barrier                                                  // 00000001F0C4: BF8A0000
	ds_read_b64 v[80:81], v4                                   // 00000001F0C8: D8EC0000 50000004
	ds_read_b64 v[84:85], v4 offset:128                        // 00000001F0D0: D8EC0080 54000004
	s_waitcnt lgkmcnt(0)                                       // 00000001F0D8: BF8CC07F
	v_and_b32_e32 v64, 0xffff, v80                             // 00000001F0DC: 2680A0FF 0000FFFF
	v_lshrrev_b32_e32 v65, 16, v80                             // 00000001F0E4: 2082A090
	v_and_b32_e32 v66, 0xffff, v81                             // 00000001F0E8: 2684A2FF 0000FFFF
	v_lshrrev_b32_e32 v67, 16, v81                             // 00000001F0F0: 2086A290
	v_cvt_f32_f16_e32 v80, v64                                 // 00000001F0F4: 7EA01740
	v_cvt_f32_f16_e32 v81, v65                                 // 00000001F0F8: 7EA21741
	v_cvt_f32_f16_e32 v82, v66                                 // 00000001F0FC: 7EA41742
	v_cvt_f32_f16_e32 v83, v67                                 // 00000001F100: 7EA61743
	v_and_b32_e32 v64, 0xffff, v84                             // 00000001F104: 2680A8FF 0000FFFF
	v_lshrrev_b32_e32 v65, 16, v84                             // 00000001F10C: 2082A890
	v_and_b32_e32 v66, 0xffff, v85                             // 00000001F110: 2684AAFF 0000FFFF
	v_lshrrev_b32_e32 v67, 16, v85                             // 00000001F118: 2086AA90
	v_cvt_f32_f16_e32 v84, v64                                 // 00000001F11C: 7EA81740
	v_cvt_f32_f16_e32 v85, v65                                 // 00000001F120: 7EAA1741
	v_cvt_f32_f16_e32 v86, v66                                 // 00000001F124: 7EAC1742
	v_cvt_f32_f16_e32 v87, v67                                 // 00000001F128: 7EAE1743
	v_mov_b32_e32 v48, 0x358637bd                              // 00000001F12C: 7E6002FF 358637BD
	v_max3_f32 v48, |v80|, |v81|, v48                          // 00000001F134: D1D30330 04C2A350
	v_max3_f32 v48, |v82|, |v83|, v48                          // 00000001F13C: D1D30330 04C2A752
	v_max3_f32 v48, |v84|, |v85|, v48                          // 00000001F144: D1D30330 04C2AB54
	v_max3_f32 v48, |v86|, |v87|, v48                          // 00000001F14C: D1D30330 04C2AF56
	ds_write_b32 v8, v48 offset:16896                          // 00000001F154: D81A4200 00003008
	s_waitcnt lgkmcnt(0)                                       // 00000001F15C: BF8CC07F
	s_barrier                                                  // 00000001F160: BF8A0000
	ds_read_b32 v64, v7 offset:16896                           // 00000001F164: D86C4200 40000007
	ds_read_b32 v65, v7 offset:16960                           // 00000001F16C: D86C4240 41000007
	ds_read_b32 v66, v7 offset:17024                           // 00000001F174: D86C4280 42000007
	ds_read_b32 v67, v7 offset:17088                           // 00000001F17C: D86C42C0 43000007
	ds_read_b32 v68, v7 offset:17152                           // 00000001F184: D86C4300 44000007
	ds_read_b32 v69, v7 offset:17216                           // 00000001F18C: D86C4340 45000007
	ds_read_b32 v70, v7 offset:17280                           // 00000001F194: D86C4380 46000007
	ds_read_b32 v71, v7 offset:17344                           // 00000001F19C: D86C43C0 47000007
	ds_read_b32 v72, v7 offset:17408                           // 00000001F1A4: D86C4400 48000007
	ds_read_b32 v73, v7 offset:17472                           // 00000001F1AC: D86C4440 49000007
	ds_read_b32 v74, v7 offset:17536                           // 00000001F1B4: D86C4480 4A000007
	ds_read_b32 v75, v7 offset:17600                           // 00000001F1BC: D86C44C0 4B000007
	ds_read_b32 v76, v7 offset:17664                           // 00000001F1C4: D86C4500 4C000007
	ds_read_b32 v77, v7 offset:17728                           // 00000001F1CC: D86C4540 4D000007
	ds_read_b32 v78, v7 offset:17792                           // 00000001F1D4: D86C4580 4E000007
	ds_read_b32 v79, v7 offset:17856                           // 00000001F1DC: D86C45C0 4F000007
	s_waitcnt lgkmcnt(0)                                       // 00000001F1E4: BF8CC07F
	v_max3_f32 v48, |v64|, |v65|, v48                          // 00000001F1E8: D1D30330 04C28340
	v_max3_f32 v48, |v66|, |v67|, v48                          // 00000001F1F0: D1D30330 04C28742
	v_max3_f32 v48, |v68|, |v69|, v48                          // 00000001F1F8: D1D30330 04C28B44
	v_max3_f32 v48, |v70|, |v71|, v48                          // 00000001F200: D1D30330 04C28F46
	v_max3_f32 v48, |v72|, |v73|, v48                          // 00000001F208: D1D30330 04C29348
	v_max3_f32 v48, |v74|, |v75|, v48                          // 00000001F210: D1D30330 04C2974A
	v_max3_f32 v48, |v76|, |v77|, v48                          // 00000001F218: D1D30330 04C29B4C
	v_max3_f32 v48, |v78|, |v79|, v48                          // 00000001F220: D1D30330 04C29F4E
	v_rcp_f32_e32 v48, v48                                     // 00000001F228: 7E604530
	s_nop 1                                                    // 00000001F22C: BF800001
	v_mul_f32_e32 v48, 0x42fe0000, v48                         // 00000001F230: 0A6060FF 42FE0000
	v_mul_f32_e32 v80, v48, v80                                // 00000001F238: 0AA0A130
	v_mul_f32_e32 v81, v48, v81                                // 00000001F23C: 0AA2A330
	v_mul_f32_e32 v82, v48, v82                                // 00000001F240: 0AA4A530
	v_mul_f32_e32 v83, v48, v83                                // 00000001F244: 0AA6A730
	v_mul_f32_e32 v84, v48, v84                                // 00000001F248: 0AA8A930
	v_mul_f32_e32 v85, v48, v85                                // 00000001F24C: 0AAAAB30
	v_mul_f32_e32 v86, v48, v86                                // 00000001F250: 0AACAD30
	v_mul_f32_e32 v87, v48, v87                                // 00000001F254: 0AAEAF30
	v_cvt_i32_f32_e32 v80, v80                                 // 00000001F258: 7EA01150
	v_cvt_i32_f32_e32 v81, v81                                 // 00000001F25C: 7EA21151
	v_cvt_i32_f32_e32 v82, v82                                 // 00000001F260: 7EA41152
	v_cvt_i32_f32_e32 v83, v83                                 // 00000001F264: 7EA61153
	v_cvt_i32_f32_e32 v84, v84                                 // 00000001F268: 7EA81154
	v_cvt_i32_f32_e32 v85, v85                                 // 00000001F26C: 7EAA1155
	v_cvt_i32_f32_e32 v86, v86                                 // 00000001F270: 7EAC1156
	v_cvt_i32_f32_e32 v87, v87                                 // 00000001F274: 7EAE1157
	v_rcp_f32_e32 v18, v48                                     // 00000001F278: 7E244530
	v_perm_b32 v80, v81, v80, s53                              // 00000001F27C: D1ED0050 00D6A151
	v_perm_b32 v80, v82, v80, s54                              // 00000001F284: D1ED0050 00DAA152
	v_perm_b32 v80, v83, v80, s55                              // 00000001F28C: D1ED0050 00DEA153
	v_perm_b32 v81, v85, v84, s53                              // 00000001F294: D1ED0051 00D6A955
	v_perm_b32 v81, v86, v81, s54                              // 00000001F29C: D1ED0051 00DAA356
	v_perm_b32 v81, v87, v81, s55                              // 00000001F2A4: D1ED0051 00DEA357
	ds_write_b32 v10, v80 offset:25088                         // 00000001F2AC: D81A6200 0000500A
	ds_write_b32 v10, v81 offset:26112                         // 00000001F2B4: D81A6600 0000510A
	s_waitcnt lgkmcnt(0)                                       // 00000001F2BC: BF8CC07F
	s_barrier                                                  // 00000001F2C0: BF8A0000
	ds_read_b64 v[80:81], v9 offset:25088                      // 00000001F2C4: D8EC6200 50000009
	ds_read_b64 v[82:83], v9 offset:25216                      // 00000001F2CC: D8EC6280 52000009
	ds_read_b64 v[84:85], v9 offset:26112                      // 00000001F2D4: D8EC6600 54000009
	ds_read_b64 v[86:87], v9 offset:26240                      // 00000001F2DC: D8EC6680 56000009
	v_mov_b32_e32 v208, 0                                      // 00000001F2E4: 7FA00280
	v_mov_b32_e32 v209, 0                                      // 00000001F2E8: 7FA20280
	v_mov_b32_e32 v210, 0                                      // 00000001F2EC: 7FA40280
	v_mov_b32_e32 v211, 0                                      // 00000001F2F0: 7FA60280
	v_mov_b32_e32 v212, 0                                      // 00000001F2F4: 7FA80280
	v_mov_b32_e32 v213, 0                                      // 00000001F2F8: 7FAA0280
	v_mov_b32_e32 v214, 0                                      // 00000001F2FC: 7FAC0280
	v_mov_b32_e32 v215, 0                                      // 00000001F300: 7FAE0280
	v_mov_b32_e32 v176, 0                                      // 00000001F304: 7F600280
	v_mov_b32_e32 v177, 0                                      // 00000001F308: 7F620280
	v_mov_b32_e32 v178, 0                                      // 00000001F30C: 7F640280
	v_mov_b32_e32 v179, 0                                      // 00000001F310: 7F660280
	v_mov_b32_e32 v180, 0                                      // 00000001F314: 7F680280
	v_mov_b32_e32 v181, 0                                      // 00000001F318: 7F6A0280
	v_mov_b32_e32 v182, 0                                      // 00000001F31C: 7F6C0280
	v_mov_b32_e32 v183, 0                                      // 00000001F320: 7F6E0280
	ds_read_b64 v[88:89], v4 offset:4224                       // 00000001F324: D8EC1080 58000004
	ds_read_b64 v[92:93], v4 offset:4352                       // 00000001F32C: D8EC1100 5C000004
	s_waitcnt lgkmcnt(0)                                       // 00000001F334: BF8CC07F
	v_and_b32_e32 v64, 0xffff, v88                             // 00000001F338: 2680B0FF 0000FFFF
	v_lshrrev_b32_e32 v65, 16, v88                             // 00000001F340: 2082B090
	v_and_b32_e32 v66, 0xffff, v89                             // 00000001F344: 2684B2FF 0000FFFF
	v_lshrrev_b32_e32 v67, 16, v89                             // 00000001F34C: 2086B290
	v_cvt_f32_f16_e32 v88, v64                                 // 00000001F350: 7EB01740
	v_cvt_f32_f16_e32 v89, v65                                 // 00000001F354: 7EB21741
	v_cvt_f32_f16_e32 v90, v66                                 // 00000001F358: 7EB41742
	v_cvt_f32_f16_e32 v91, v67                                 // 00000001F35C: 7EB61743
	v_and_b32_e32 v64, 0xffff, v92                             // 00000001F360: 2680B8FF 0000FFFF
	v_lshrrev_b32_e32 v65, 16, v92                             // 00000001F368: 2082B890
	v_and_b32_e32 v66, 0xffff, v93                             // 00000001F36C: 2684BAFF 0000FFFF
	v_lshrrev_b32_e32 v67, 16, v93                             // 00000001F374: 2086BA90
	v_cvt_f32_f16_e32 v92, v64                                 // 00000001F378: 7EB81740
	v_cvt_f32_f16_e32 v93, v65                                 // 00000001F37C: 7EBA1741
	v_cvt_f32_f16_e32 v94, v66                                 // 00000001F380: 7EBC1742
	v_cvt_f32_f16_e32 v95, v67                                 // 00000001F384: 7EBE1743
	v_mov_b32_e32 v48, 0x358637bd                              // 00000001F388: 7E6002FF 358637BD
	v_max3_f32 v48, |v88|, |v89|, v48                          // 00000001F390: D1D30330 04C2B358
	v_max3_f32 v48, |v90|, |v91|, v48                          // 00000001F398: D1D30330 04C2B75A
	v_max3_f32 v48, |v92|, |v93|, v48                          // 00000001F3A0: D1D30330 04C2BB5C
	v_max3_f32 v48, |v94|, |v95|, v48                          // 00000001F3A8: D1D30330 04C2BF5E
	ds_write_b32 v8, v48 offset:16896                          // 00000001F3B0: D81A4200 00003008
	s_waitcnt lgkmcnt(0)                                       // 00000001F3B8: BF8CC07F
	s_barrier                                                  // 00000001F3BC: BF8A0000
	ds_read_b32 v64, v7 offset:16896                           // 00000001F3C0: D86C4200 40000007
	ds_read_b32 v65, v7 offset:16960                           // 00000001F3C8: D86C4240 41000007
	ds_read_b32 v66, v7 offset:17024                           // 00000001F3D0: D86C4280 42000007
	ds_read_b32 v67, v7 offset:17088                           // 00000001F3D8: D86C42C0 43000007
	ds_read_b32 v68, v7 offset:17152                           // 00000001F3E0: D86C4300 44000007
	ds_read_b32 v69, v7 offset:17216                           // 00000001F3E8: D86C4340 45000007
	ds_read_b32 v70, v7 offset:17280                           // 00000001F3F0: D86C4380 46000007
	ds_read_b32 v71, v7 offset:17344                           // 00000001F3F8: D86C43C0 47000007
	ds_read_b32 v72, v7 offset:17408                           // 00000001F400: D86C4400 48000007
	ds_read_b32 v73, v7 offset:17472                           // 00000001F408: D86C4440 49000007
	ds_read_b32 v74, v7 offset:17536                           // 00000001F410: D86C4480 4A000007
	ds_read_b32 v75, v7 offset:17600                           // 00000001F418: D86C44C0 4B000007
	ds_read_b32 v76, v7 offset:17664                           // 00000001F420: D86C4500 4C000007
	ds_read_b32 v77, v7 offset:17728                           // 00000001F428: D86C4540 4D000007
	ds_read_b32 v78, v7 offset:17792                           // 00000001F430: D86C4580 4E000007
	ds_read_b32 v79, v7 offset:17856                           // 00000001F438: D86C45C0 4F000007
	s_waitcnt lgkmcnt(0)                                       // 00000001F440: BF8CC07F
	v_max3_f32 v48, |v64|, |v65|, v48                          // 00000001F444: D1D30330 04C28340
	v_max3_f32 v48, |v66|, |v67|, v48                          // 00000001F44C: D1D30330 04C28742
	v_max3_f32 v48, |v68|, |v69|, v48                          // 00000001F454: D1D30330 04C28B44
	v_max3_f32 v48, |v70|, |v71|, v48                          // 00000001F45C: D1D30330 04C28F46
	v_max3_f32 v48, |v72|, |v73|, v48                          // 00000001F464: D1D30330 04C29348
	v_max3_f32 v48, |v74|, |v75|, v48                          // 00000001F46C: D1D30330 04C2974A
	v_max3_f32 v48, |v76|, |v77|, v48                          // 00000001F474: D1D30330 04C29B4C
	v_max3_f32 v48, |v78|, |v79|, v48                          // 00000001F47C: D1D30330 04C29F4E
	v_rcp_f32_e32 v48, v48                                     // 00000001F484: 7E604530
	s_nop 1                                                    // 00000001F488: BF800001
	v_mul_f32_e32 v48, 0x42fe0000, v48                         // 00000001F48C: 0A6060FF 42FE0000
	v_mul_f32_e32 v88, v48, v88                                // 00000001F494: 0AB0B130
	v_mul_f32_e32 v89, v48, v89                                // 00000001F498: 0AB2B330
	v_mul_f32_e32 v90, v48, v90                                // 00000001F49C: 0AB4B530
	v_mul_f32_e32 v91, v48, v91                                // 00000001F4A0: 0AB6B730
	v_mul_f32_e32 v92, v48, v92                                // 00000001F4A4: 0AB8B930
	v_mul_f32_e32 v93, v48, v93                                // 00000001F4A8: 0ABABB30
	v_mul_f32_e32 v94, v48, v94                                // 00000001F4AC: 0ABCBD30
	v_mul_f32_e32 v95, v48, v95                                // 00000001F4B0: 0ABEBF30
	v_cvt_i32_f32_e32 v88, v88                                 // 00000001F4B4: 7EB01158
	v_cvt_i32_f32_e32 v89, v89                                 // 00000001F4B8: 7EB21159
	v_cvt_i32_f32_e32 v90, v90                                 // 00000001F4BC: 7EB4115A
	v_cvt_i32_f32_e32 v91, v91                                 // 00000001F4C0: 7EB6115B
	v_cvt_i32_f32_e32 v92, v92                                 // 00000001F4C4: 7EB8115C
	v_cvt_i32_f32_e32 v93, v93                                 // 00000001F4C8: 7EBA115D
	v_cvt_i32_f32_e32 v94, v94                                 // 00000001F4CC: 7EBC115E
	v_cvt_i32_f32_e32 v95, v95                                 // 00000001F4D0: 7EBE115F
	v_rcp_f32_e32 v19, v48                                     // 00000001F4D4: 7E264530
	v_perm_b32 v88, v89, v88, s53                              // 00000001F4D8: D1ED0058 00D6B159
	v_perm_b32 v88, v90, v88, s54                              // 00000001F4E0: D1ED0058 00DAB15A
	v_perm_b32 v88, v91, v88, s55                              // 00000001F4E8: D1ED0058 00DEB15B
	v_perm_b32 v89, v93, v92, s53                              // 00000001F4F0: D1ED0059 00D6B95D
	v_perm_b32 v89, v94, v89, s54                              // 00000001F4F8: D1ED0059 00DAB35E
	v_perm_b32 v89, v95, v89, s55                              // 00000001F500: D1ED0059 00DEB35F
	ds_write_b32 v10, v88 offset:25088                         // 00000001F508: D81A6200 0000580A
	ds_write_b32 v10, v89 offset:26112                         // 00000001F510: D81A6600 0000590A
	s_waitcnt lgkmcnt(0)                                       // 00000001F518: BF8CC07F
	s_barrier                                                  // 00000001F51C: BF8A0000
	ds_read_b64 v[88:89], v9 offset:25088                      // 00000001F520: D8EC6200 58000009
	ds_read_b64 v[90:91], v9 offset:25216                      // 00000001F528: D8EC6280 5A000009
	ds_read_b64 v[92:93], v9 offset:26112                      // 00000001F530: D8EC6600 5C000009
	ds_read_b64 v[94:95], v9 offset:26240                      // 00000001F538: D8EC6680 5E000009
	v_mov_b32_e32 v216, 0                                      // 00000001F540: 7FB00280
	v_mov_b32_e32 v217, 0                                      // 00000001F544: 7FB20280
	v_mov_b32_e32 v218, 0                                      // 00000001F548: 7FB40280
	v_mov_b32_e32 v219, 0                                      // 00000001F54C: 7FB60280
	v_mov_b32_e32 v220, 0                                      // 00000001F550: 7FB80280
	v_mov_b32_e32 v221, 0                                      // 00000001F554: 7FBA0280
	v_mov_b32_e32 v222, 0                                      // 00000001F558: 7FBC0280
	v_mov_b32_e32 v223, 0                                      // 00000001F55C: 7FBE0280
	v_mov_b32_e32 v184, 0                                      // 00000001F560: 7F700280
	v_mov_b32_e32 v185, 0                                      // 00000001F564: 7F720280
	v_mov_b32_e32 v186, 0                                      // 00000001F568: 7F740280
	v_mov_b32_e32 v187, 0                                      // 00000001F56C: 7F760280
	v_mov_b32_e32 v188, 0                                      // 00000001F570: 7F780280
	v_mov_b32_e32 v189, 0                                      // 00000001F574: 7F7A0280
	v_mov_b32_e32 v190, 0                                      // 00000001F578: 7F7C0280
	v_mov_b32_e32 v191, 0                                      // 00000001F57C: 7F7E0280
	ds_read_b64 v[96:97], v4 offset:8448                       // 00000001F580: D8EC2100 60000004
	ds_read_b64 v[100:101], v4 offset:8576                     // 00000001F588: D8EC2180 64000004
	s_waitcnt lgkmcnt(0)                                       // 00000001F590: BF8CC07F
	v_and_b32_e32 v64, 0xffff, v96                             // 00000001F594: 2680C0FF 0000FFFF
	v_lshrrev_b32_e32 v65, 16, v96                             // 00000001F59C: 2082C090
	v_and_b32_e32 v66, 0xffff, v97                             // 00000001F5A0: 2684C2FF 0000FFFF
	v_lshrrev_b32_e32 v67, 16, v97                             // 00000001F5A8: 2086C290
	v_cvt_f32_f16_e32 v96, v64                                 // 00000001F5AC: 7EC01740
	v_cvt_f32_f16_e32 v97, v65                                 // 00000001F5B0: 7EC21741
	v_cvt_f32_f16_e32 v98, v66                                 // 00000001F5B4: 7EC41742
	v_cvt_f32_f16_e32 v99, v67                                 // 00000001F5B8: 7EC61743
	v_and_b32_e32 v64, 0xffff, v100                            // 00000001F5BC: 2680C8FF 0000FFFF
	v_lshrrev_b32_e32 v65, 16, v100                            // 00000001F5C4: 2082C890
	v_and_b32_e32 v66, 0xffff, v101                            // 00000001F5C8: 2684CAFF 0000FFFF
	v_lshrrev_b32_e32 v67, 16, v101                            // 00000001F5D0: 2086CA90
	v_cvt_f32_f16_e32 v100, v64                                // 00000001F5D4: 7EC81740
	v_cvt_f32_f16_e32 v101, v65                                // 00000001F5D8: 7ECA1741
	v_cvt_f32_f16_e32 v102, v66                                // 00000001F5DC: 7ECC1742
	v_cvt_f32_f16_e32 v103, v67                                // 00000001F5E0: 7ECE1743
	v_mov_b32_e32 v48, 0x358637bd                              // 00000001F5E4: 7E6002FF 358637BD
	v_max3_f32 v48, |v96|, |v97|, v48                          // 00000001F5EC: D1D30330 04C2C360
	v_max3_f32 v48, |v98|, |v99|, v48                          // 00000001F5F4: D1D30330 04C2C762
	v_max3_f32 v48, |v100|, |v101|, v48                        // 00000001F5FC: D1D30330 04C2CB64
	v_max3_f32 v48, |v102|, |v103|, v48                        // 00000001F604: D1D30330 04C2CF66
	ds_write_b32 v8, v48 offset:16896                          // 00000001F60C: D81A4200 00003008
	s_waitcnt lgkmcnt(0)                                       // 00000001F614: BF8CC07F
	s_barrier                                                  // 00000001F618: BF8A0000
	ds_read_b32 v64, v7 offset:16896                           // 00000001F61C: D86C4200 40000007
	ds_read_b32 v65, v7 offset:16960                           // 00000001F624: D86C4240 41000007
	ds_read_b32 v66, v7 offset:17024                           // 00000001F62C: D86C4280 42000007
	ds_read_b32 v67, v7 offset:17088                           // 00000001F634: D86C42C0 43000007
	ds_read_b32 v68, v7 offset:17152                           // 00000001F63C: D86C4300 44000007
	ds_read_b32 v69, v7 offset:17216                           // 00000001F644: D86C4340 45000007
	ds_read_b32 v70, v7 offset:17280                           // 00000001F64C: D86C4380 46000007
	ds_read_b32 v71, v7 offset:17344                           // 00000001F654: D86C43C0 47000007
	ds_read_b32 v72, v7 offset:17408                           // 00000001F65C: D86C4400 48000007
	ds_read_b32 v73, v7 offset:17472                           // 00000001F664: D86C4440 49000007
	ds_read_b32 v74, v7 offset:17536                           // 00000001F66C: D86C4480 4A000007
	ds_read_b32 v75, v7 offset:17600                           // 00000001F674: D86C44C0 4B000007
	ds_read_b32 v76, v7 offset:17664                           // 00000001F67C: D86C4500 4C000007
	ds_read_b32 v77, v7 offset:17728                           // 00000001F684: D86C4540 4D000007
	ds_read_b32 v78, v7 offset:17792                           // 00000001F68C: D86C4580 4E000007
	ds_read_b32 v79, v7 offset:17856                           // 00000001F694: D86C45C0 4F000007
	s_waitcnt lgkmcnt(0)                                       // 00000001F69C: BF8CC07F
	v_max3_f32 v48, |v64|, |v65|, v48                          // 00000001F6A0: D1D30330 04C28340
	v_max3_f32 v48, |v66|, |v67|, v48                          // 00000001F6A8: D1D30330 04C28742
	v_max3_f32 v48, |v68|, |v69|, v48                          // 00000001F6B0: D1D30330 04C28B44
	v_max3_f32 v48, |v70|, |v71|, v48                          // 00000001F6B8: D1D30330 04C28F46
	v_max3_f32 v48, |v72|, |v73|, v48                          // 00000001F6C0: D1D30330 04C29348
	v_max3_f32 v48, |v74|, |v75|, v48                          // 00000001F6C8: D1D30330 04C2974A
	v_max3_f32 v48, |v76|, |v77|, v48                          // 00000001F6D0: D1D30330 04C29B4C
	v_max3_f32 v48, |v78|, |v79|, v48                          // 00000001F6D8: D1D30330 04C29F4E
	v_rcp_f32_e32 v48, v48                                     // 00000001F6E0: 7E604530
	s_nop 1                                                    // 00000001F6E4: BF800001
	v_mul_f32_e32 v48, 0x42fe0000, v48                         // 00000001F6E8: 0A6060FF 42FE0000
	v_mul_f32_e32 v96, v48, v96                                // 00000001F6F0: 0AC0C130
	v_mul_f32_e32 v97, v48, v97                                // 00000001F6F4: 0AC2C330
	v_mul_f32_e32 v98, v48, v98                                // 00000001F6F8: 0AC4C530
	v_mul_f32_e32 v99, v48, v99                                // 00000001F6FC: 0AC6C730
	v_mul_f32_e32 v100, v48, v100                              // 00000001F700: 0AC8C930
	v_mul_f32_e32 v101, v48, v101                              // 00000001F704: 0ACACB30
	v_mul_f32_e32 v102, v48, v102                              // 00000001F708: 0ACCCD30
	v_mul_f32_e32 v103, v48, v103                              // 00000001F70C: 0ACECF30
	v_cvt_i32_f32_e32 v96, v96                                 // 00000001F710: 7EC01160
	v_cvt_i32_f32_e32 v97, v97                                 // 00000001F714: 7EC21161
	v_cvt_i32_f32_e32 v98, v98                                 // 00000001F718: 7EC41162
	v_cvt_i32_f32_e32 v99, v99                                 // 00000001F71C: 7EC61163
	v_cvt_i32_f32_e32 v100, v100                               // 00000001F720: 7EC81164
	v_cvt_i32_f32_e32 v101, v101                               // 00000001F724: 7ECA1165
	v_cvt_i32_f32_e32 v102, v102                               // 00000001F728: 7ECC1166
	v_cvt_i32_f32_e32 v103, v103                               // 00000001F72C: 7ECE1167
	v_rcp_f32_e32 v20, v48                                     // 00000001F730: 7E284530
	v_perm_b32 v96, v97, v96, s53                              // 00000001F734: D1ED0060 00D6C161
	v_perm_b32 v96, v98, v96, s54                              // 00000001F73C: D1ED0060 00DAC162
	v_perm_b32 v96, v99, v96, s55                              // 00000001F744: D1ED0060 00DEC163
	v_perm_b32 v97, v101, v100, s53                            // 00000001F74C: D1ED0061 00D6C965
	v_perm_b32 v97, v102, v97, s54                             // 00000001F754: D1ED0061 00DAC366
	v_perm_b32 v97, v103, v97, s55                             // 00000001F75C: D1ED0061 00DEC367
	ds_write_b32 v10, v96 offset:25088                         // 00000001F764: D81A6200 0000600A
	ds_write_b32 v10, v97 offset:26112                         // 00000001F76C: D81A6600 0000610A
	s_waitcnt lgkmcnt(0)                                       // 00000001F774: BF8CC07F
	s_barrier                                                  // 00000001F778: BF8A0000
	ds_read_b64 v[96:97], v9 offset:25088                      // 00000001F77C: D8EC6200 60000009
	ds_read_b64 v[98:99], v9 offset:25216                      // 00000001F784: D8EC6280 62000009
	ds_read_b64 v[100:101], v9 offset:26112                    // 00000001F78C: D8EC6600 64000009
	ds_read_b64 v[102:103], v9 offset:26240                    // 00000001F794: D8EC6680 66000009
	v_mov_b32_e32 v224, 0                                      // 00000001F79C: 7FC00280
	v_mov_b32_e32 v225, 0                                      // 00000001F7A0: 7FC20280
	v_mov_b32_e32 v226, 0                                      // 00000001F7A4: 7FC40280
	v_mov_b32_e32 v227, 0                                      // 00000001F7A8: 7FC60280
	v_mov_b32_e32 v228, 0                                      // 00000001F7AC: 7FC80280
	v_mov_b32_e32 v229, 0                                      // 00000001F7B0: 7FCA0280
	v_mov_b32_e32 v230, 0                                      // 00000001F7B4: 7FCC0280
	v_mov_b32_e32 v231, 0                                      // 00000001F7B8: 7FCE0280
	v_mov_b32_e32 v192, 0                                      // 00000001F7BC: 7F800280
	v_mov_b32_e32 v193, 0                                      // 00000001F7C0: 7F820280
	v_mov_b32_e32 v194, 0                                      // 00000001F7C4: 7F840280
	v_mov_b32_e32 v195, 0                                      // 00000001F7C8: 7F860280
	v_mov_b32_e32 v196, 0                                      // 00000001F7CC: 7F880280
	v_mov_b32_e32 v197, 0                                      // 00000001F7D0: 7F8A0280
	v_mov_b32_e32 v198, 0                                      // 00000001F7D4: 7F8C0280
	v_mov_b32_e32 v199, 0                                      // 00000001F7D8: 7F8E0280
	ds_read_b64 v[104:105], v4 offset:12672                    // 00000001F7DC: D8EC3180 68000004
	ds_read_b64 v[108:109], v4 offset:12800                    // 00000001F7E4: D8EC3200 6C000004
	s_waitcnt lgkmcnt(0)                                       // 00000001F7EC: BF8CC07F
	v_and_b32_e32 v64, 0xffff, v104                            // 00000001F7F0: 2680D0FF 0000FFFF
	v_lshrrev_b32_e32 v65, 16, v104                            // 00000001F7F8: 2082D090
	v_and_b32_e32 v66, 0xffff, v105                            // 00000001F7FC: 2684D2FF 0000FFFF
	v_lshrrev_b32_e32 v67, 16, v105                            // 00000001F804: 2086D290
	v_cvt_f32_f16_e32 v104, v64                                // 00000001F808: 7ED01740
	v_cvt_f32_f16_e32 v105, v65                                // 00000001F80C: 7ED21741
	v_cvt_f32_f16_e32 v106, v66                                // 00000001F810: 7ED41742
	v_cvt_f32_f16_e32 v107, v67                                // 00000001F814: 7ED61743
	v_and_b32_e32 v64, 0xffff, v108                            // 00000001F818: 2680D8FF 0000FFFF
	v_lshrrev_b32_e32 v65, 16, v108                            // 00000001F820: 2082D890
	v_and_b32_e32 v66, 0xffff, v109                            // 00000001F824: 2684DAFF 0000FFFF
	v_lshrrev_b32_e32 v67, 16, v109                            // 00000001F82C: 2086DA90
	v_cvt_f32_f16_e32 v108, v64                                // 00000001F830: 7ED81740
	v_cvt_f32_f16_e32 v109, v65                                // 00000001F834: 7EDA1741
	v_cvt_f32_f16_e32 v110, v66                                // 00000001F838: 7EDC1742
	v_cvt_f32_f16_e32 v111, v67                                // 00000001F83C: 7EDE1743
	v_mov_b32_e32 v48, 0x358637bd                              // 00000001F840: 7E6002FF 358637BD
	v_max3_f32 v48, |v104|, |v105|, v48                        // 00000001F848: D1D30330 04C2D368
	v_max3_f32 v48, |v106|, |v107|, v48                        // 00000001F850: D1D30330 04C2D76A
	v_max3_f32 v48, |v108|, |v109|, v48                        // 00000001F858: D1D30330 04C2DB6C
	v_max3_f32 v48, |v110|, |v111|, v48                        // 00000001F860: D1D30330 04C2DF6E
	ds_write_b32 v8, v48 offset:16896                          // 00000001F868: D81A4200 00003008
	s_waitcnt lgkmcnt(0)                                       // 00000001F870: BF8CC07F
	s_barrier                                                  // 00000001F874: BF8A0000
	ds_read_b32 v64, v7 offset:16896                           // 00000001F878: D86C4200 40000007
	ds_read_b32 v65, v7 offset:16960                           // 00000001F880: D86C4240 41000007
	ds_read_b32 v66, v7 offset:17024                           // 00000001F888: D86C4280 42000007
	ds_read_b32 v67, v7 offset:17088                           // 00000001F890: D86C42C0 43000007
	ds_read_b32 v68, v7 offset:17152                           // 00000001F898: D86C4300 44000007
	ds_read_b32 v69, v7 offset:17216                           // 00000001F8A0: D86C4340 45000007
	ds_read_b32 v70, v7 offset:17280                           // 00000001F8A8: D86C4380 46000007
	ds_read_b32 v71, v7 offset:17344                           // 00000001F8B0: D86C43C0 47000007
	ds_read_b32 v72, v7 offset:17408                           // 00000001F8B8: D86C4400 48000007
	ds_read_b32 v73, v7 offset:17472                           // 00000001F8C0: D86C4440 49000007
	ds_read_b32 v74, v7 offset:17536                           // 00000001F8C8: D86C4480 4A000007
	ds_read_b32 v75, v7 offset:17600                           // 00000001F8D0: D86C44C0 4B000007
	ds_read_b32 v76, v7 offset:17664                           // 00000001F8D8: D86C4500 4C000007
	ds_read_b32 v77, v7 offset:17728                           // 00000001F8E0: D86C4540 4D000007
	ds_read_b32 v78, v7 offset:17792                           // 00000001F8E8: D86C4580 4E000007
	ds_read_b32 v79, v7 offset:17856                           // 00000001F8F0: D86C45C0 4F000007
	s_waitcnt lgkmcnt(0)                                       // 00000001F8F8: BF8CC07F
	v_max3_f32 v48, |v64|, |v65|, v48                          // 00000001F8FC: D1D30330 04C28340
	v_max3_f32 v48, |v66|, |v67|, v48                          // 00000001F904: D1D30330 04C28742
	v_max3_f32 v48, |v68|, |v69|, v48                          // 00000001F90C: D1D30330 04C28B44
	v_max3_f32 v48, |v70|, |v71|, v48                          // 00000001F914: D1D30330 04C28F46
	v_max3_f32 v48, |v72|, |v73|, v48                          // 00000001F91C: D1D30330 04C29348
	v_max3_f32 v48, |v74|, |v75|, v48                          // 00000001F924: D1D30330 04C2974A
	v_max3_f32 v48, |v76|, |v77|, v48                          // 00000001F92C: D1D30330 04C29B4C
	v_max3_f32 v48, |v78|, |v79|, v48                          // 00000001F934: D1D30330 04C29F4E
	v_rcp_f32_e32 v48, v48                                     // 00000001F93C: 7E604530
	s_nop 1                                                    // 00000001F940: BF800001
	v_mul_f32_e32 v48, 0x42fe0000, v48                         // 00000001F944: 0A6060FF 42FE0000
	v_mul_f32_e32 v104, v48, v104                              // 00000001F94C: 0AD0D130
	v_mul_f32_e32 v105, v48, v105                              // 00000001F950: 0AD2D330
	v_mul_f32_e32 v106, v48, v106                              // 00000001F954: 0AD4D530
	v_mul_f32_e32 v107, v48, v107                              // 00000001F958: 0AD6D730
	v_mul_f32_e32 v108, v48, v108                              // 00000001F95C: 0AD8D930
	v_mul_f32_e32 v109, v48, v109                              // 00000001F960: 0ADADB30
	v_mul_f32_e32 v110, v48, v110                              // 00000001F964: 0ADCDD30
	v_mul_f32_e32 v111, v48, v111                              // 00000001F968: 0ADEDF30
	v_cvt_i32_f32_e32 v104, v104                               // 00000001F96C: 7ED01168
	v_cvt_i32_f32_e32 v105, v105                               // 00000001F970: 7ED21169
	v_cvt_i32_f32_e32 v106, v106                               // 00000001F974: 7ED4116A
	v_cvt_i32_f32_e32 v107, v107                               // 00000001F978: 7ED6116B
	v_cvt_i32_f32_e32 v108, v108                               // 00000001F97C: 7ED8116C
	v_cvt_i32_f32_e32 v109, v109                               // 00000001F980: 7EDA116D
	v_cvt_i32_f32_e32 v110, v110                               // 00000001F984: 7EDC116E
	v_cvt_i32_f32_e32 v111, v111                               // 00000001F988: 7EDE116F
	v_rcp_f32_e32 v21, v48                                     // 00000001F98C: 7E2A4530
	v_perm_b32 v104, v105, v104, s53                           // 00000001F990: D1ED0068 00D6D169
	v_perm_b32 v104, v106, v104, s54                           // 00000001F998: D1ED0068 00DAD16A
	v_perm_b32 v104, v107, v104, s55                           // 00000001F9A0: D1ED0068 00DED16B
	v_perm_b32 v105, v109, v108, s53                           // 00000001F9A8: D1ED0069 00D6D96D
	v_perm_b32 v105, v110, v105, s54                           // 00000001F9B0: D1ED0069 00DAD36E
	v_perm_b32 v105, v111, v105, s55                           // 00000001F9B8: D1ED0069 00DED36F
	ds_write_b32 v10, v104 offset:25088                        // 00000001F9C0: D81A6200 0000680A
	ds_write_b32 v10, v105 offset:26112                        // 00000001F9C8: D81A6600 0000690A
	s_waitcnt lgkmcnt(0)                                       // 00000001F9D0: BF8CC07F
	s_barrier                                                  // 00000001F9D4: BF8A0000
	ds_read_b64 v[104:105], v9 offset:25088                    // 00000001F9D8: D8EC6200 68000009
	ds_read_b64 v[106:107], v9 offset:25216                    // 00000001F9E0: D8EC6280 6A000009
	ds_read_b64 v[108:109], v9 offset:26112                    // 00000001F9E8: D8EC6600 6C000009
	ds_read_b64 v[110:111], v9 offset:26240                    // 00000001F9F0: D8EC6680 6E000009
	v_mov_b32_e32 v232, 0                                      // 00000001F9F8: 7FD00280
	v_mov_b32_e32 v233, 0                                      // 00000001F9FC: 7FD20280
	v_mov_b32_e32 v234, 0                                      // 00000001FA00: 7FD40280
	v_mov_b32_e32 v235, 0                                      // 00000001FA04: 7FD60280
	v_mov_b32_e32 v236, 0                                      // 00000001FA08: 7FD80280
	v_mov_b32_e32 v237, 0                                      // 00000001FA0C: 7FDA0280
	v_mov_b32_e32 v238, 0                                      // 00000001FA10: 7FDC0280
	v_mov_b32_e32 v239, 0                                      // 00000001FA14: 7FDE0280
	v_mov_b32_e32 v200, 0                                      // 00000001FA18: 7F900280
	v_mov_b32_e32 v201, 0                                      // 00000001FA1C: 7F920280
	v_mov_b32_e32 v202, 0                                      // 00000001FA20: 7F940280
	v_mov_b32_e32 v203, 0                                      // 00000001FA24: 7F960280
	v_mov_b32_e32 v204, 0                                      // 00000001FA28: 7F980280
	v_mov_b32_e32 v205, 0                                      // 00000001FA2C: 7F9A0280
	v_mov_b32_e32 v206, 0                                      // 00000001FA30: 7F9C0280
	v_mov_b32_e32 v207, 0                                      // 00000001FA34: 7F9E0280
	s_waitcnt vmcnt(8) lgkmcnt(0)                              // 00000001FA38: BF8C0078
	s_barrier                                                  // 00000001FA3C: BF8A0000
	s_cmp_lt_u32 s73, 16                                       // 00000001FA40: BF0A9049
	s_cbranch_scc1 label_A105                                  // 00000001FA44: BF852AF3
	s_cmp_lt_i32 s7, 2                                         // 00000001FA48: BF048207
	s_cbranch_scc0 label_8B8E                                  // 00000001FA4C: BF84157A

000000000001fa50 <label_7614>:
	s_waitcnt vmcnt(8) lgkmcnt(0)                              // 00000001FA50: BF8C0078
	v_mul_u32_u24_dpp v64, v17, v54 row_newbcast:0 row_mask:0xf bank_mask:0xf// 00000001FA54: 10806CFA FF015011
	v_mul_u32_u24_dpp v65, v17, v54 row_newbcast:4 row_mask:0xf bank_mask:0xf// 00000001FA5C: 10826CFA FF015411
	v_mul_u32_u24_dpp v66, v17, v54 row_newbcast:8 row_mask:0xf bank_mask:0xf// 00000001FA64: 10846CFA FF015811
	v_mul_u32_u24_dpp v67, v17, v54 row_newbcast:12 row_mask:0xf bank_mask:0xf// 00000001FA6C: 10866CFA FF015C11
	v_add_u32_e32 v26, v64, v5                                 // 00000001FA74: 68340B40
	v_add_u32_e32 v27, v65, v5                                 // 00000001FA78: 68360B41
	v_add_u32_e32 v28, v66, v5                                 // 00000001FA7C: 68380B42
	v_add_u32_e32 v29, v67, v5                                 // 00000001FA80: 683A0B43
	v_mul_u32_u24_dpp v64, v17, v63 quad_perm:[0,0,0,0] row_mask:0xf bank_mask:0xf// 00000001FA84: 10807EFA FF000011
	v_add_u32_e32 v3, v64, v59                                 // 00000001FA8C: 68067740
	v_mul_u32_u24_dpp v64, v17, v63 quad_perm:[0,0,0,0] row_mask:0xf bank_mask:0xf// 00000001FA90: 10807EFA FF000011
	v_add_u32_e32 v56, v64, v60                                // 00000001FA98: 68707940
	v_mfma_i32_16x16x32_i8 v[112:115], a[0:1], v[80:81], 0     // 00000001FA9C: D3D70070 0A02A100
	v_mfma_i32_16x16x32_i8 v[112:115], a[2:3], v[82:83], v[112:115]// 00000001FAA4: D3D70070 0DC2A502
	buffer_load_dwordx4 a[32:35], v26, s[16:19], 0 offen       // 00000001FAAC: E05C1000 8084201A
	v_mfma_i32_16x16x32_i8 v[112:115], a[4:5], v[84:85], v[112:115]// 00000001FAB4: D3D70070 0DC2A904
	v_mfma_i32_16x16x32_i8 v[112:115], a[6:7], v[86:87], v[112:115]// 00000001FABC: D3D70070 0DC2AD06
	buffer_load_dword v16, v1, s[24:27], 0 offen               // 00000001FAC4: E0501000 80061001
	v_mfma_i32_16x16x32_i8 v[116:119], a[8:9], v[80:81], 0     // 00000001FACC: D3D70074 0A02A108
	v_mfma_i32_16x16x32_i8 v[116:119], a[10:11], v[82:83], v[116:119]// 00000001FAD4: D3D70074 0DD2A50A
	buffer_load_dwordx4 a[36:39], v26, s[16:19], 0 offen offset:1024// 00000001FADC: E05C1400 8084241A
	v_mfma_i32_16x16x32_i8 v[116:119], a[12:13], v[84:85], v[116:119]// 00000001FAE4: D3D70074 0DD2A90C
	v_mfma_i32_16x16x32_i8 v[116:119], a[14:15], v[86:87], v[116:119]// 00000001FAEC: D3D70074 0DD2AD0E
	v_mfma_i32_16x16x32_i8 v[120:123], a[16:17], v[80:81], 0   // 00000001FAF4: D3D70078 0A02A110
	v_mfma_i32_16x16x32_i8 v[120:123], a[18:19], v[82:83], v[120:123]// 00000001FAFC: D3D70078 0DE2A512
	buffer_load_dwordx4 a[40:43], v27, s[16:19], 0 offen       // 00000001FB04: E05C1000 8084281B
	v_mfma_i32_16x16x32_i8 v[120:123], a[20:21], v[84:85], v[120:123]// 00000001FB0C: D3D70078 0DE2A914
	v_mfma_i32_16x16x32_i8 v[120:123], a[22:23], v[86:87], v[120:123]// 00000001FB14: D3D70078 0DE2AD16
	v_mfma_i32_16x16x32_i8 v[124:127], a[24:25], v[80:81], 0   // 00000001FB1C: D3D7007C 0A02A118
	v_mfma_i32_16x16x32_i8 v[124:127], a[26:27], v[82:83], v[124:127]// 00000001FB24: D3D7007C 0DF2A51A
	buffer_load_dwordx4 a[44:47], v27, s[16:19], 0 offen offset:1024// 00000001FB2C: E05C1400 80842C1B
	v_mfma_i32_16x16x32_i8 v[124:127], a[28:29], v[84:85], v[124:127]// 00000001FB34: D3D7007C 0DF2A91C
	v_mfma_i32_16x16x32_i8 v[124:127], a[30:31], v[86:87], v[124:127]// 00000001FB3C: D3D7007C 0DF2AD1E
	v_mfma_i32_16x16x32_i8 v[128:131], a[0:1], v[88:89], 0     // 00000001FB44: D3D70080 0A02B100
	v_mfma_i32_16x16x32_i8 v[128:131], a[2:3], v[90:91], v[128:131]// 00000001FB4C: D3D70080 0E02B502
	v_mfma_i32_16x16x32_i8 v[128:131], a[4:5], v[92:93], v[128:131]// 00000001FB54: D3D70080 0E02B904
	v_mfma_i32_16x16x32_i8 v[128:131], a[6:7], v[94:95], v[128:131]// 00000001FB5C: D3D70080 0E02BD06
	v_mfma_i32_16x16x32_i8 v[132:135], a[8:9], v[88:89], 0     // 00000001FB64: D3D70084 0A02B108
	v_mfma_i32_16x16x32_i8 v[132:135], a[10:11], v[90:91], v[132:135]// 00000001FB6C: D3D70084 0E12B50A
	v_mfma_i32_16x16x32_i8 v[132:135], a[12:13], v[92:93], v[132:135]// 00000001FB74: D3D70084 0E12B90C
	v_mfma_i32_16x16x32_i8 v[132:135], a[14:15], v[94:95], v[132:135]// 00000001FB7C: D3D70084 0E12BD0E
	v_mfma_i32_16x16x32_i8 v[136:139], a[16:17], v[88:89], 0   // 00000001FB84: D3D70088 0A02B110
	v_mfma_i32_16x16x32_i8 v[136:139], a[18:19], v[90:91], v[136:139]// 00000001FB8C: D3D70088 0E22B512
	v_mfma_i32_16x16x32_i8 v[136:139], a[20:21], v[92:93], v[136:139]// 00000001FB94: D3D70088 0E22B914
	v_mfma_i32_16x16x32_i8 v[136:139], a[22:23], v[94:95], v[136:139]// 00000001FB9C: D3D70088 0E22BD16
	v_mfma_i32_16x16x32_i8 v[140:143], a[24:25], v[88:89], 0   // 00000001FBA4: D3D7008C 0A02B118
	v_mfma_i32_16x16x32_i8 v[140:143], a[26:27], v[90:91], v[140:143]// 00000001FBAC: D3D7008C 0E32B51A
	v_mfma_i32_16x16x32_i8 v[140:143], a[28:29], v[92:93], v[140:143]// 00000001FBB4: D3D7008C 0E32B91C
	v_mfma_i32_16x16x32_i8 v[140:143], a[30:31], v[94:95], v[140:143]// 00000001FBBC: D3D7008C 0E32BD1E
	v_mfma_i32_16x16x32_i8 v[144:147], a[0:1], v[96:97], 0     // 00000001FBC4: D3D70090 0A02C100
	v_mfma_i32_16x16x32_i8 v[144:147], a[2:3], v[98:99], v[144:147]// 00000001FBCC: D3D70090 0E42C502
	v_mfma_i32_16x16x32_i8 v[144:147], a[4:5], v[100:101], v[144:147]// 00000001FBD4: D3D70090 0E42C904
	v_mfma_i32_16x16x32_i8 v[144:147], a[6:7], v[102:103], v[144:147]// 00000001FBDC: D3D70090 0E42CD06
	v_mfma_i32_16x16x32_i8 v[148:151], a[8:9], v[96:97], 0     // 00000001FBE4: D3D70094 0A02C108
	v_mfma_i32_16x16x32_i8 v[148:151], a[10:11], v[98:99], v[148:151]// 00000001FBEC: D3D70094 0E52C50A
	v_mfma_i32_16x16x32_i8 v[148:151], a[12:13], v[100:101], v[148:151]// 00000001FBF4: D3D70094 0E52C90C
	v_mfma_i32_16x16x32_i8 v[148:151], a[14:15], v[102:103], v[148:151]// 00000001FBFC: D3D70094 0E52CD0E
	v_mfma_i32_16x16x32_i8 v[152:155], a[16:17], v[96:97], 0   // 00000001FC04: D3D70098 0A02C110
	v_mfma_i32_16x16x32_i8 v[152:155], a[18:19], v[98:99], v[152:155]// 00000001FC0C: D3D70098 0E62C512
	v_mfma_i32_16x16x32_i8 v[152:155], a[20:21], v[100:101], v[152:155]// 00000001FC14: D3D70098 0E62C914
	v_mfma_i32_16x16x32_i8 v[152:155], a[22:23], v[102:103], v[152:155]// 00000001FC1C: D3D70098 0E62CD16
	v_mfma_i32_16x16x32_i8 v[156:159], a[24:25], v[96:97], 0   // 00000001FC24: D3D7009C 0A02C118
	v_mfma_i32_16x16x32_i8 v[156:159], a[26:27], v[98:99], v[156:159]// 00000001FC2C: D3D7009C 0E72C51A
	v_mfma_i32_16x16x32_i8 v[156:159], a[28:29], v[100:101], v[156:159]// 00000001FC34: D3D7009C 0E72C91C
	v_mfma_i32_16x16x32_i8 v[156:159], a[30:31], v[102:103], v[156:159]// 00000001FC3C: D3D7009C 0E72CD1E
	v_mfma_i32_16x16x32_i8 v[160:163], a[0:1], v[104:105], 0   // 00000001FC44: D3D700A0 0A02D100
	v_mfma_i32_16x16x32_i8 v[160:163], a[2:3], v[106:107], v[160:163]// 00000001FC4C: D3D700A0 0E82D502
	v_mfma_i32_16x16x32_i8 v[160:163], a[4:5], v[108:109], v[160:163]// 00000001FC54: D3D700A0 0E82D904
	v_mfma_i32_16x16x32_i8 v[160:163], a[6:7], v[110:111], v[160:163]// 00000001FC5C: D3D700A0 0E82DD06
	v_mfma_i32_16x16x32_i8 v[164:167], a[8:9], v[104:105], 0   // 00000001FC64: D3D700A4 0A02D108
	v_mfma_i32_16x16x32_i8 v[164:167], a[10:11], v[106:107], v[164:167]// 00000001FC6C: D3D700A4 0E92D50A
	v_mfma_i32_16x16x32_i8 v[164:167], a[12:13], v[108:109], v[164:167]// 00000001FC74: D3D700A4 0E92D90C
	v_mfma_i32_16x16x32_i8 v[164:167], a[14:15], v[110:111], v[164:167]// 00000001FC7C: D3D700A4 0E92DD0E
	v_mfma_i32_16x16x32_i8 v[168:171], a[16:17], v[104:105], 0 // 00000001FC84: D3D700A8 0A02D110
	v_mfma_i32_16x16x32_i8 v[168:171], a[18:19], v[106:107], v[168:171]// 00000001FC8C: D3D700A8 0EA2D512
	v_mfma_i32_16x16x32_i8 v[168:171], a[20:21], v[108:109], v[168:171]// 00000001FC94: D3D700A8 0EA2D914
	v_mfma_i32_16x16x32_i8 v[168:171], a[22:23], v[110:111], v[168:171]// 00000001FC9C: D3D700A8 0EA2DD16
	v_mfma_i32_16x16x32_i8 v[172:175], a[24:25], v[104:105], 0 // 00000001FCA4: D3D700AC 0A02D118
	v_mfma_i32_16x16x32_i8 v[172:175], a[26:27], v[106:107], v[172:175]// 00000001FCAC: D3D700AC 0EB2D51A
	v_mfma_i32_16x16x32_i8 v[172:175], a[28:29], v[108:109], v[172:175]// 00000001FCB4: D3D700AC 0EB2D91C
	v_mfma_i32_16x16x32_i8 v[172:175], a[30:31], v[110:111], v[172:175]// 00000001FCBC: D3D700AC 0EB2DD1E
	buffer_load_dword v43, v3, s[32:35], 0 offen               // 00000001FCC4: E0501000 80082B03
	v_mov_b32_dpp v64, v42 row_shr:4 row_mask:0xf bank_mask:0xf// 00000001FCCC: 7E8002FA FF01142A
	v_mov_b32_dpp v65, v42 row_shl:4 row_mask:0xf bank_mask:0xf// 00000001FCD4: 7E8202FA FF01042A
	v_cndmask_b32_e64 v248, v42, v64, s[44:45]                 // 00000001FCDC: D10000F8 00B2812A
	v_cndmask_b32_e64 v249, v65, v42, s[44:45]                 // 00000001FCE4: D10000F9 00B25541
	v_mov_b32_dpp v64, v248 row_shr:8 row_mask:0xf bank_mask:0xf// 00000001FCEC: 7E8002FA FF0118F8
	v_mov_b32_dpp v65, v248 row_shl:8 row_mask:0xf bank_mask:0xf// 00000001FCF4: 7E8202FA FF0108F8
	v_mov_b32_dpp v66, v249 row_shr:8 row_mask:0xf bank_mask:0xf// 00000001FCFC: 7E8402FA FF0118F9
	v_mov_b32_dpp v67, v249 row_shl:8 row_mask:0xf bank_mask:0xf// 00000001FD04: 7E8602FA FF0108F9
	v_mov_b32_e32 v68, v248                                    // 00000001FD0C: 7E8803F8
	v_mov_b32_e32 v69, v249                                    // 00000001FD10: 7E8A03F9
	v_cndmask_b32_e64 v248, v68, v64, s[42:43]                 // 00000001FD14: D10000F8 00AA8144
	v_cndmask_b32_e64 v250, v68, v65, s[78:79]                 // 00000001FD1C: D10000FA 013A8344
	v_cndmask_b32_e64 v249, v69, v66, s[42:43]                 // 00000001FD24: D10000F9 00AA8545
	v_cndmask_b32_e64 v251, v69, v67, s[78:79]                 // 00000001FD2C: D10000FB 013A8745
	v_mov_b32_dpp v64, v57 row_shr:4 row_mask:0xf bank_mask:0xf// 00000001FD34: 7E8002FA FF011439
	v_mov_b32_dpp v65, v57 row_shl:4 row_mask:0xf bank_mask:0xf// 00000001FD3C: 7E8202FA FF010439
	v_cndmask_b32_e64 v252, v57, v64, s[44:45]                 // 00000001FD44: D10000FC 00B28139
	v_cndmask_b32_e64 v253, v65, v57, s[44:45]                 // 00000001FD4C: D10000FD 00B27341
	v_mov_b32_dpp v64, v252 row_shr:8 row_mask:0xf bank_mask:0xf// 00000001FD54: 7E8002FA FF0118FC
	v_mov_b32_dpp v65, v252 row_shl:8 row_mask:0xf bank_mask:0xf// 00000001FD5C: 7E8202FA FF0108FC
	v_mov_b32_dpp v66, v253 row_shr:8 row_mask:0xf bank_mask:0xf// 00000001FD64: 7E8402FA FF0118FD
	v_mov_b32_dpp v67, v253 row_shl:8 row_mask:0xf bank_mask:0xf// 00000001FD6C: 7E8602FA FF0108FD
	v_mov_b32_e32 v68, v252                                    // 00000001FD74: 7E8803FC
	v_mov_b32_e32 v69, v253                                    // 00000001FD78: 7E8A03FD
	v_cndmask_b32_e64 v252, v68, v64, s[42:43]                 // 00000001FD7C: D10000FC 00AA8144
	v_cndmask_b32_e64 v254, v68, v65, s[78:79]                 // 00000001FD84: D10000FE 013A8344
	v_cndmask_b32_e64 v253, v69, v66, s[42:43]                 // 00000001FD8C: D10000FD 00AA8545
	v_cndmask_b32_e64 v255, v69, v67, s[78:79]                 // 00000001FD94: D10000FF 013A8745
	buffer_load_dword v58, v56, s[36:39], 0 offen              // 00000001FD9C: E0501000 80093A38
	v_cvt_f32_i32_e32 v112, v112                               // 00000001FDA4: 7EE00B70
	v_cvt_f32_i32_e32 v113, v113                               // 00000001FDA8: 7EE20B71
	v_cvt_f32_i32_e32 v114, v114                               // 00000001FDAC: 7EE40B72
	v_cvt_f32_i32_e32 v115, v115                               // 00000001FDB0: 7EE60B73
	v_cvt_f32_i32_e32 v116, v116                               // 00000001FDB4: 7EE80B74
	v_cvt_f32_i32_e32 v117, v117                               // 00000001FDB8: 7EEA0B75
	v_cvt_f32_i32_e32 v118, v118                               // 00000001FDBC: 7EEC0B76
	v_cvt_f32_i32_e32 v119, v119                               // 00000001FDC0: 7EEE0B77
	v_cvt_f32_i32_e32 v120, v120                               // 00000001FDC4: 7EF00B78
	v_cvt_f32_i32_e32 v121, v121                               // 00000001FDC8: 7EF20B79
	v_cvt_f32_i32_e32 v122, v122                               // 00000001FDCC: 7EF40B7A
	v_cvt_f32_i32_e32 v123, v123                               // 00000001FDD0: 7EF60B7B
	v_cvt_f32_i32_e32 v124, v124                               // 00000001FDD4: 7EF80B7C
	v_cvt_f32_i32_e32 v125, v125                               // 00000001FDD8: 7EFA0B7D
	v_cvt_f32_i32_e32 v126, v126                               // 00000001FDDC: 7EFC0B7E
	v_cvt_f32_i32_e32 v127, v127                               // 00000001FDE0: 7EFE0B7F
	v_mul_f32_e32 v112, v18, v112                              // 00000001FDE4: 0AE0E112
	v_mul_f32_e32 v113, v18, v113                              // 00000001FDE8: 0AE2E312
	v_mul_f32_e32 v114, v18, v114                              // 00000001FDEC: 0AE4E512
	v_mul_f32_e32 v115, v18, v115                              // 00000001FDF0: 0AE6E712
	v_mul_f32_e32 v116, v18, v116                              // 00000001FDF4: 0AE8E912
	v_mul_f32_e32 v117, v18, v117                              // 00000001FDF8: 0AEAEB12
	v_mul_f32_e32 v118, v18, v118                              // 00000001FDFC: 0AECED12
	v_mul_f32_e32 v119, v18, v119                              // 00000001FE00: 0AEEEF12
	v_mul_f32_e32 v120, v18, v120                              // 00000001FE04: 0AF0F112
	v_mul_f32_e32 v121, v18, v121                              // 00000001FE08: 0AF2F312
	v_mul_f32_e32 v122, v18, v122                              // 00000001FE0C: 0AF4F512
	v_mul_f32_e32 v123, v18, v123                              // 00000001FE10: 0AF6F712
	v_mul_f32_e32 v124, v18, v124                              // 00000001FE14: 0AF8F912
	v_mul_f32_e32 v125, v18, v125                              // 00000001FE18: 0AFAFB12
	v_mul_f32_e32 v126, v18, v126                              // 00000001FE1C: 0AFCFD12
	v_mul_f32_e32 v127, v18, v127                              // 00000001FE20: 0AFEFF12
	buffer_load_dwordx4 a[48:51], v28, s[16:19], 0 offen       // 00000001FE24: E05C1000 8084301C
	v_mul_f32_dpp v112, v248, v112 quad_perm:[0,0,0,0] row_mask:0xf bank_mask:0xf// 00000001FE2C: 0AE0E0FA FF0000F8
	v_mul_f32_dpp v113, v248, v113 quad_perm:[1,1,1,1] row_mask:0xf bank_mask:0xf// 00000001FE34: 0AE2E2FA FF0055F8
	v_mul_f32_dpp v114, v248, v114 quad_perm:[2,2,2,2] row_mask:0xf bank_mask:0xf// 00000001FE3C: 0AE4E4FA FF00AAF8
	v_mul_f32_dpp v115, v248, v115 quad_perm:[3,3,3,3] row_mask:0xf bank_mask:0xf// 00000001FE44: 0AE6E6FA FF00FFF8
	v_mul_f32_dpp v116, v249, v116 quad_perm:[0,0,0,0] row_mask:0xf bank_mask:0xf// 00000001FE4C: 0AE8E8FA FF0000F9
	v_mul_f32_dpp v117, v249, v117 quad_perm:[1,1,1,1] row_mask:0xf bank_mask:0xf// 00000001FE54: 0AEAEAFA FF0055F9
	v_mul_f32_dpp v118, v249, v118 quad_perm:[2,2,2,2] row_mask:0xf bank_mask:0xf// 00000001FE5C: 0AECECFA FF00AAF9
	v_mul_f32_dpp v119, v249, v119 quad_perm:[3,3,3,3] row_mask:0xf bank_mask:0xf// 00000001FE64: 0AEEEEFA FF00FFF9
	v_mul_f32_dpp v120, v250, v120 quad_perm:[0,0,0,0] row_mask:0xf bank_mask:0xf// 00000001FE6C: 0AF0F0FA FF0000FA
	v_mul_f32_dpp v121, v250, v121 quad_perm:[1,1,1,1] row_mask:0xf bank_mask:0xf// 00000001FE74: 0AF2F2FA FF0055FA
	v_mul_f32_dpp v122, v250, v122 quad_perm:[2,2,2,2] row_mask:0xf bank_mask:0xf// 00000001FE7C: 0AF4F4FA FF00AAFA
	v_mul_f32_dpp v123, v250, v123 quad_perm:[3,3,3,3] row_mask:0xf bank_mask:0xf// 00000001FE84: 0AF6F6FA FF00FFFA
	v_mul_f32_dpp v124, v251, v124 quad_perm:[0,0,0,0] row_mask:0xf bank_mask:0xf// 00000001FE8C: 0AF8F8FA FF0000FB
	v_mul_f32_dpp v125, v251, v125 quad_perm:[1,1,1,1] row_mask:0xf bank_mask:0xf// 00000001FE94: 0AFAFAFA FF0055FB
	v_mul_f32_dpp v126, v251, v126 quad_perm:[2,2,2,2] row_mask:0xf bank_mask:0xf// 00000001FE9C: 0AFCFCFA FF00AAFB
	v_mul_f32_dpp v127, v251, v127 quad_perm:[3,3,3,3] row_mask:0xf bank_mask:0xf// 00000001FEA4: 0AFEFEFA FF00FFFB
	buffer_load_dwordx4 a[52:55], v28, s[16:19], 0 offen offset:1024// 00000001FEAC: E05C1400 8084341C
	s_cmp_le_i32 s90, s89                                      // 00000001FEB4: BF05595A
	s_cbranch_scc1 label_77A0                                  // 00000001FEB8: BF850071
	v_mov_b32_e32 v66, 0xff800000                              // 00000001FEBC: 7E8402FF FF800000
	s_mov_b32 s60, s90                                         // 00000001FEC4: BEBC005A
	s_add_u32 s61, s89, 0xff                                   // 00000001FEC8: 803DFF59 000000FF
	v_mov_b32_e32 v64, s61                                     // 00000001FED0: 7E80023D
	v_lshrrev_b32_e32 v240, 4, v0                              // 00000001FED4: 21E00084
	v_mul_i32_i24_e32 v240, 4, v240                            // 00000001FED8: 0DE1E084
	v_add_u32_e32 v240, s60, v240                              // 00000001FEDC: 69E1E03C
	s_mov_b32 s61, 0                                           // 00000001FEE0: BEBD0080
	s_mul_i32 s60, 16, s7                                      // 00000001FEE4: 923C0790
	v_sub_u32_e64 v240, v240, s61                              // 00000001FEE8: D13500F0 00007BF0
	v_add_u32_e32 v240, s60, v240                              // 00000001FEF0: 69E1E03C
	v_add_u32_e32 v241, 1, v240                                // 00000001FEF4: 69E3E081
	v_add_u32_e32 v242, 2, v240                                // 00000001FEF8: 69E5E082
	v_add_u32_e32 v243, 3, v240                                // 00000001FEFC: 69E7E083
	v_cmp_le_u32_e64 s[40:41], v240, v64                       // 00000001FF00: D0CB0028 000281F0
	v_add_u32_e32 v240, 64, v240                               // 00000001FF08: 69E1E0C0
	s_nop 0                                                    // 00000001FF0C: BF800000
	v_cndmask_b32_e64 v112, v66, v112, s[40:41]                // 00000001FF10: D1000070 00A2E142
	v_cmp_le_u32_e64 s[40:41], v241, v64                       // 00000001FF18: D0CB0028 000281F1
	v_add_u32_e32 v241, 64, v241                               // 00000001FF20: 69E3E2C0
	s_nop 0                                                    // 00000001FF24: BF800000
	v_cndmask_b32_e64 v113, v66, v113, s[40:41]                // 00000001FF28: D1000071 00A2E342
	v_cmp_le_u32_e64 s[40:41], v242, v64                       // 00000001FF30: D0CB0028 000281F2
	v_add_u32_e32 v242, 64, v242                               // 00000001FF38: 69E5E4C0
	s_nop 0                                                    // 00000001FF3C: BF800000
	v_cndmask_b32_e64 v114, v66, v114, s[40:41]                // 00000001FF40: D1000072 00A2E542
	v_cmp_le_u32_e64 s[40:41], v243, v64                       // 00000001FF48: D0CB0028 000281F3
	v_add_u32_e32 v243, 64, v243                               // 00000001FF50: 69E7E6C0
	s_nop 0                                                    // 00000001FF54: BF800000
	v_cndmask_b32_e64 v115, v66, v115, s[40:41]                // 00000001FF58: D1000073 00A2E742
	v_cmp_le_u32_e64 s[40:41], v240, v64                       // 00000001FF60: D0CB0028 000281F0
	v_add_u32_e32 v240, 64, v240                               // 00000001FF68: 69E1E0C0
	s_nop 0                                                    // 00000001FF6C: BF800000
	v_cndmask_b32_e64 v116, v66, v116, s[40:41]                // 00000001FF70: D1000074 00A2E942
	v_cmp_le_u32_e64 s[40:41], v241, v64                       // 00000001FF78: D0CB0028 000281F1
	v_add_u32_e32 v241, 64, v241                               // 00000001FF80: 69E3E2C0
	s_nop 0                                                    // 00000001FF84: BF800000
	v_cndmask_b32_e64 v117, v66, v117, s[40:41]                // 00000001FF88: D1000075 00A2EB42
	v_cmp_le_u32_e64 s[40:41], v242, v64                       // 00000001FF90: D0CB0028 000281F2
	v_add_u32_e32 v242, 64, v242                               // 00000001FF98: 69E5E4C0
	s_nop 0                                                    // 00000001FF9C: BF800000
	v_cndmask_b32_e64 v118, v66, v118, s[40:41]                // 00000001FFA0: D1000076 00A2ED42
	v_cmp_le_u32_e64 s[40:41], v243, v64                       // 00000001FFA8: D0CB0028 000281F3
	v_add_u32_e32 v243, 64, v243                               // 00000001FFB0: 69E7E6C0
	s_nop 0                                                    // 00000001FFB4: BF800000
	v_cndmask_b32_e64 v119, v66, v119, s[40:41]                // 00000001FFB8: D1000077 00A2EF42
	v_cmp_le_u32_e64 s[40:41], v240, v64                       // 00000001FFC0: D0CB0028 000281F0
	v_add_u32_e32 v240, 64, v240                               // 00000001FFC8: 69E1E0C0
	s_nop 0                                                    // 00000001FFCC: BF800000
	v_cndmask_b32_e64 v120, v66, v120, s[40:41]                // 00000001FFD0: D1000078 00A2F142
	v_cmp_le_u32_e64 s[40:41], v241, v64                       // 00000001FFD8: D0CB0028 000281F1
	v_add_u32_e32 v241, 64, v241                               // 00000001FFE0: 69E3E2C0
	s_nop 0                                                    // 00000001FFE4: BF800000
	v_cndmask_b32_e64 v121, v66, v121, s[40:41]                // 00000001FFE8: D1000079 00A2F342
	v_cmp_le_u32_e64 s[40:41], v242, v64                       // 00000001FFF0: D0CB0028 000281F2
	v_add_u32_e32 v242, 64, v242                               // 00000001FFF8: 69E5E4C0
	s_nop 0                                                    // 00000001FFFC: BF800000
	v_cndmask_b32_e64 v122, v66, v122, s[40:41]                // 000000020000: D100007A 00A2F542
	v_cmp_le_u32_e64 s[40:41], v243, v64                       // 000000020008: D0CB0028 000281F3
	v_add_u32_e32 v243, 64, v243                               // 000000020010: 69E7E6C0
	s_nop 0                                                    // 000000020014: BF800000
	v_cndmask_b32_e64 v123, v66, v123, s[40:41]                // 000000020018: D100007B 00A2F742
	v_cmp_le_u32_e64 s[40:41], v240, v64                       // 000000020020: D0CB0028 000281F0
	v_add_u32_e32 v240, 64, v240                               // 000000020028: 69E1E0C0
	s_nop 0                                                    // 00000002002C: BF800000
	v_cndmask_b32_e64 v124, v66, v124, s[40:41]                // 000000020030: D100007C 00A2F942
	v_cmp_le_u32_e64 s[40:41], v241, v64                       // 000000020038: D0CB0028 000281F1
	v_add_u32_e32 v241, 64, v241                               // 000000020040: 69E3E2C0
	s_nop 0                                                    // 000000020044: BF800000
	v_cndmask_b32_e64 v125, v66, v125, s[40:41]                // 000000020048: D100007D 00A2FB42
	v_cmp_le_u32_e64 s[40:41], v242, v64                       // 000000020050: D0CB0028 000281F2
	v_add_u32_e32 v242, 64, v242                               // 000000020058: 69E5E4C0
	s_nop 0                                                    // 00000002005C: BF800000
	v_cndmask_b32_e64 v126, v66, v126, s[40:41]                // 000000020060: D100007E 00A2FD42
	v_cmp_le_u32_e64 s[40:41], v243, v64                       // 000000020068: D0CB0028 000281F3
	v_add_u32_e32 v243, 64, v243                               // 000000020070: 69E7E6C0
	s_nop 0                                                    // 000000020074: BF800000
	v_cndmask_b32_e64 v127, v66, v127, s[40:41]                // 000000020078: D100007F 00A2FF42

0000000000020080 <label_77A0>:
	v_mov_b32_e32 v48, v112                                    // 000000020080: 7E600370
	v_max3_f32 v48, v112, v113, v48                            // 000000020084: D1D30030 04C2E370
	v_max3_f32 v48, v114, v115, v48                            // 00000002008C: D1D30030 04C2E772
	v_max3_f32 v48, v116, v117, v48                            // 000000020094: D1D30030 04C2EB74
	v_max3_f32 v48, v118, v119, v48                            // 00000002009C: D1D30030 04C2EF76
	v_max3_f32 v48, v120, v121, v48                            // 0000000200A4: D1D30030 04C2F378
	v_max3_f32 v48, v122, v123, v48                            // 0000000200AC: D1D30030 04C2F77A
	v_max3_f32 v48, v124, v125, v48                            // 0000000200B4: D1D30030 04C2FB7C
	v_max3_f32 v48, v126, v127, v48                            // 0000000200BC: D1D30030 04C2FF7E
	ds_write_b32 v8, v48 offset:16896                          // 0000000200C4: D81A4200 00003008
	buffer_load_dwordx4 a[56:59], v29, s[16:19], 0 offen       // 0000000200CC: E05C1000 8084381D
	v_mul_u32_u24_dpp v64, v17, v54 row_newbcast:1 row_mask:0xf bank_mask:0xf// 0000000200D4: 10806CFA FF015111
	v_mul_u32_u24_dpp v65, v17, v54 row_newbcast:5 row_mask:0xf bank_mask:0xf// 0000000200DC: 10826CFA FF015511
	v_mul_u32_u24_dpp v66, v17, v54 row_newbcast:9 row_mask:0xf bank_mask:0xf// 0000000200E4: 10846CFA FF015911
	v_mul_u32_u24_dpp v67, v17, v54 row_newbcast:13 row_mask:0xf bank_mask:0xf// 0000000200EC: 10866CFA FF015D11
	v_add_u32_e32 v34, v64, v6                                 // 0000000200F4: 68440D40
	v_add_u32_e32 v35, v65, v6                                 // 0000000200F8: 68460D41
	v_add_u32_e32 v36, v66, v6                                 // 0000000200FC: 68480D42
	v_add_u32_e32 v37, v67, v6                                 // 000000020100: 684A0D43
	v_mul_f32_e32 v208, v49, v208                              // 000000020104: 0BA1A131
	v_mul_f32_e32 v209, v49, v209                              // 000000020108: 0BA3A331
	v_mul_f32_e32 v210, v49, v210                              // 00000002010C: 0BA5A531
	v_mul_f32_e32 v211, v49, v211                              // 000000020110: 0BA7A731
	v_mul_f32_e32 v212, v49, v212                              // 000000020114: 0BA9A931
	v_mul_f32_e32 v213, v49, v213                              // 000000020118: 0BABAB31
	v_mul_f32_e32 v214, v49, v214                              // 00000002011C: 0BADAD31
	v_mul_f32_e32 v215, v49, v215                              // 000000020120: 0BAFAF31
	s_waitcnt lgkmcnt(0)                                       // 000000020124: BF8CC07F
	s_barrier                                                  // 000000020128: BF8A0000
	ds_read_b32 v64, v7 offset:16896                           // 00000002012C: D86C4200 40000007
	ds_read_b32 v65, v7 offset:16960                           // 000000020134: D86C4240 41000007
	ds_read_b32 v66, v7 offset:17024                           // 00000002013C: D86C4280 42000007
	ds_read_b32 v67, v7 offset:17088                           // 000000020144: D86C42C0 43000007
	ds_read_b32 v68, v7 offset:17152                           // 00000002014C: D86C4300 44000007
	ds_read_b32 v69, v7 offset:17216                           // 000000020154: D86C4340 45000007
	ds_read_b32 v70, v7 offset:17280                           // 00000002015C: D86C4380 46000007
	ds_read_b32 v71, v7 offset:17344                           // 000000020164: D86C43C0 47000007
	ds_read_b32 v72, v7 offset:17408                           // 00000002016C: D86C4400 48000007
	ds_read_b32 v73, v7 offset:17472                           // 000000020174: D86C4440 49000007
	ds_read_b32 v74, v7 offset:17536                           // 00000002017C: D86C4480 4A000007
	ds_read_b32 v75, v7 offset:17600                           // 000000020184: D86C44C0 4B000007
	ds_read_b32 v76, v7 offset:17664                           // 00000002018C: D86C4500 4C000007
	ds_read_b32 v77, v7 offset:17728                           // 000000020194: D86C4540 4D000007
	ds_read_b32 v78, v7 offset:17792                           // 00000002019C: D86C4580 4E000007
	ds_read_b32 v79, v7 offset:17856                           // 0000000201A4: D86C45C0 4F000007
	buffer_load_dwordx4 a[60:63], v29, s[16:19], 0 offen offset:1024// 0000000201AC: E05C1400 80843C1D
	v_cvt_f32_i32_e32 v176, v176                               // 0000000201B4: 7F600BB0
	v_cvt_f32_i32_e32 v177, v177                               // 0000000201B8: 7F620BB1
	v_cvt_f32_i32_e32 v178, v178                               // 0000000201BC: 7F640BB2
	v_cvt_f32_i32_e32 v179, v179                               // 0000000201C0: 7F660BB3
	v_cvt_f32_i32_e32 v180, v180                               // 0000000201C4: 7F680BB4
	v_cvt_f32_i32_e32 v181, v181                               // 0000000201C8: 7F6A0BB5
	v_cvt_f32_i32_e32 v182, v182                               // 0000000201CC: 7F6C0BB6
	v_cvt_f32_i32_e32 v183, v183                               // 0000000201D0: 7F6E0BB7
	v_mul_f32_e32 v176, v44, v176                              // 0000000201D4: 0B61612C
	v_mul_f32_e32 v177, v44, v177                              // 0000000201D8: 0B63632C
	v_mul_f32_e32 v178, v44, v178                              // 0000000201DC: 0B65652C
	v_mul_f32_e32 v179, v44, v179                              // 0000000201E0: 0B67672C
	v_mul_f32_e32 v180, v44, v180                              // 0000000201E4: 0B69692C
	v_mul_f32_e32 v181, v44, v181                              // 0000000201E8: 0B6B6B2C
	v_mul_f32_e32 v182, v44, v182                              // 0000000201EC: 0B6D6D2C
	v_mul_f32_e32 v183, v44, v183                              // 0000000201F0: 0B6F6F2C
	s_waitcnt lgkmcnt(0)                                       // 0000000201F4: BF8CC07F
	v_max3_f32 v48, v64, v65, v48                              // 0000000201F8: D1D30030 04C28340
	v_max3_f32 v48, v66, v67, v48                              // 000000020200: D1D30030 04C28742
	v_max3_f32 v48, v68, v69, v48                              // 000000020208: D1D30030 04C28B44
	v_max3_f32 v48, v70, v71, v48                              // 000000020210: D1D30030 04C28F46
	v_max3_f32 v48, v72, v73, v48                              // 000000020218: D1D30030 04C29348
	v_max3_f32 v48, v74, v75, v48                              // 000000020220: D1D30030 04C2974A
	v_max3_f32 v48, v76, v77, v48                              // 000000020228: D1D30030 04C29B4C
	v_max3_f32 v48, v78, v79, v48                              // 000000020230: D1D30030 04C29F4E
	buffer_load_dwordx4 a[96:99], v34, s[20:23], 0 offen       // 000000020238: E05C1000 80856022
	v_mov_b32_e32 v64, 0xff800000                              // 000000020240: 7E8002FF FF800000
	v_cmp_eq_u32_e64 s[40:41], v64, v11                        // 000000020248: D0CA0028 00021740
	s_nop 1                                                    // 000000020250: BF800001
	v_max_f32_e32 v15, v48, v11                                // 000000020254: 161E1730
	v_mul_f32_e32 v53, s64, v15                                // 000000020258: 0A6A1E40
	v_fma_f32 v112, v112, s64, -v53                            // 00000002025C: D1CB0070 84D48170
	v_fma_f32 v113, v113, s64, -v53                            // 000000020264: D1CB0071 84D48171
	v_fma_f32 v114, v114, s64, -v53                            // 00000002026C: D1CB0072 84D48172
	v_fma_f32 v115, v115, s64, -v53                            // 000000020274: D1CB0073 84D48173
	v_fma_f32 v116, v116, s64, -v53                            // 00000002027C: D1CB0074 84D48174
	v_fma_f32 v117, v117, s64, -v53                            // 000000020284: D1CB0075 84D48175
	v_fma_f32 v118, v118, s64, -v53                            // 00000002028C: D1CB0076 84D48176
	v_fma_f32 v119, v119, s64, -v53                            // 000000020294: D1CB0077 84D48177
	v_fma_f32 v120, v120, s64, -v53                            // 00000002029C: D1CB0078 84D48178
	v_fma_f32 v121, v121, s64, -v53                            // 0000000202A4: D1CB0079 84D48179
	v_fma_f32 v122, v122, s64, -v53                            // 0000000202AC: D1CB007A 84D4817A
	v_fma_f32 v123, v123, s64, -v53                            // 0000000202B4: D1CB007B 84D4817B
	v_fma_f32 v124, v124, s64, -v53                            // 0000000202BC: D1CB007C 84D4817C
	v_fma_f32 v125, v125, s64, -v53                            // 0000000202C4: D1CB007D 84D4817D
	v_fma_f32 v126, v126, s64, -v53                            // 0000000202CC: D1CB007E 84D4817E
	v_fma_f32 v127, v127, s64, -v53                            // 0000000202D4: D1CB007F 84D4817F
	buffer_load_dwordx4 a[100:103], v35, s[20:23], 0 offen     // 0000000202DC: E05C1000 80856423
	v_exp_f32_e32 v112, v112                                   // 0000000202E4: 7EE04170
	v_exp_f32_e32 v113, v113                                   // 0000000202E8: 7EE24171
	v_exp_f32_e32 v114, v114                                   // 0000000202EC: 7EE44172
	v_exp_f32_e32 v115, v115                                   // 0000000202F0: 7EE64173
	v_exp_f32_e32 v116, v116                                   // 0000000202F4: 7EE84174
	v_exp_f32_e32 v117, v117                                   // 0000000202F8: 7EEA4175
	v_exp_f32_e32 v118, v118                                   // 0000000202FC: 7EEC4176
	v_exp_f32_e32 v119, v119                                   // 000000020300: 7EEE4177
	v_exp_f32_e32 v120, v120                                   // 000000020304: 7EF04178
	v_exp_f32_e32 v121, v121                                   // 000000020308: 7EF24179
	v_exp_f32_e32 v122, v122                                   // 00000002030C: 7EF4417A
	v_exp_f32_e32 v123, v123                                   // 000000020310: 7EF6417B
	v_exp_f32_e32 v124, v124                                   // 000000020314: 7EF8417C
	v_exp_f32_e32 v125, v125                                   // 000000020318: 7EFA417D
	v_exp_f32_e32 v126, v126                                   // 00000002031C: 7EFC417E
	v_exp_f32_e32 v127, v127                                   // 000000020320: 7EFE417F
	buffer_load_dwordx4 a[104:107], v36, s[20:23], 0 offen     // 000000020324: E05C1000 80856824
	v_mul_f32_dpp v240, v252, v112 quad_perm:[0,0,0,0] row_mask:0xf bank_mask:0xf// 00000002032C: 0BE0E0FA FF0000FC
	v_mul_f32_dpp v241, v252, v113 quad_perm:[1,1,1,1] row_mask:0xf bank_mask:0xf// 000000020334: 0BE2E2FA FF0055FC
	v_mul_f32_dpp v242, v252, v114 quad_perm:[2,2,2,2] row_mask:0xf bank_mask:0xf// 00000002033C: 0BE4E4FA FF00AAFC
	v_mul_f32_dpp v243, v252, v115 quad_perm:[3,3,3,3] row_mask:0xf bank_mask:0xf// 000000020344: 0BE6E6FA FF00FFFC
	v_mul_f32_dpp v244, v253, v116 quad_perm:[0,0,0,0] row_mask:0xf bank_mask:0xf// 00000002034C: 0BE8E8FA FF0000FD
	v_mul_f32_dpp v245, v253, v117 quad_perm:[1,1,1,1] row_mask:0xf bank_mask:0xf// 000000020354: 0BEAEAFA FF0055FD
	v_mul_f32_dpp v246, v253, v118 quad_perm:[2,2,2,2] row_mask:0xf bank_mask:0xf// 00000002035C: 0BECECFA FF00AAFD
	v_mul_f32_dpp v247, v253, v119 quad_perm:[3,3,3,3] row_mask:0xf bank_mask:0xf// 000000020364: 0BEEEEFA FF00FFFD
	v_mul_f32_dpp v248, v254, v120 quad_perm:[0,0,0,0] row_mask:0xf bank_mask:0xf// 00000002036C: 0BF0F0FA FF0000FE
	v_mul_f32_dpp v249, v254, v121 quad_perm:[1,1,1,1] row_mask:0xf bank_mask:0xf// 000000020374: 0BF2F2FA FF0055FE
	v_mul_f32_dpp v250, v254, v122 quad_perm:[2,2,2,2] row_mask:0xf bank_mask:0xf// 00000002037C: 0BF4F4FA FF00AAFE
	v_mul_f32_dpp v251, v254, v123 quad_perm:[3,3,3,3] row_mask:0xf bank_mask:0xf// 000000020384: 0BF6F6FA FF00FFFE
	v_mul_f32_dpp v252, v255, v124 quad_perm:[0,0,0,0] row_mask:0xf bank_mask:0xf// 00000002038C: 0BF8F8FA FF0000FF
	v_mul_f32_dpp v253, v255, v125 quad_perm:[1,1,1,1] row_mask:0xf bank_mask:0xf// 000000020394: 0BFAFAFA FF0055FF
	v_mul_f32_dpp v254, v255, v126 quad_perm:[2,2,2,2] row_mask:0xf bank_mask:0xf// 00000002039C: 0BFCFCFA FF00AAFF
	v_mul_f32_dpp v255, v255, v127 quad_perm:[3,3,3,3] row_mask:0xf bank_mask:0xf// 0000000203A4: 0BFEFEFA FF00FFFF
	v_mov_b32_e32 v48, 0x358637bd                              // 0000000203AC: 7E6002FF 358637BD
	v_max3_f32 v48, |v240|, |v241|, v48                        // 0000000203B4: D1D30330 04C3E3F0
	v_max3_f32 v48, |v242|, |v243|, v48                        // 0000000203BC: D1D30330 04C3E7F2
	v_max3_f32 v48, |v244|, |v245|, v48                        // 0000000203C4: D1D30330 04C3EBF4
	v_max3_f32 v48, |v246|, |v247|, v48                        // 0000000203CC: D1D30330 04C3EFF6
	v_max3_f32 v48, |v248|, |v249|, v48                        // 0000000203D4: D1D30330 04C3F3F8
	v_max3_f32 v48, |v250|, |v251|, v48                        // 0000000203DC: D1D30330 04C3F7FA
	v_max3_f32 v48, |v252|, |v253|, v48                        // 0000000203E4: D1D30330 04C3FBFC
	v_max3_f32 v48, |v254|, |v255|, v48                        // 0000000203EC: D1D30330 04C3FFFE
	buffer_load_dwordx4 a[108:111], v37, s[20:23], 0 offen     // 0000000203F4: E05C1000 80856C25
	ds_write_b32 v8, v48 offset:20992                          // 0000000203FC: D81A5200 00003008
	v_sub_f32_e32 v49, v11, v15                                // 000000020404: 04621F0B
	v_cndmask_b32_e64 v49, v49, 0, s[40:41]                    // 000000020408: D1000031 00A10131
	v_mov_b32_e32 v11, v15                                     // 000000020410: 7E16030F
	v_mul_f32_e32 v49, s64, v49                                // 000000020414: 0A626240
	v_exp_f32_e32 v49, v49                                     // 000000020418: 7E624131
	s_waitcnt lgkmcnt(0)                                       // 00000002041C: BF8CC07F
	s_barrier                                                  // 000000020420: BF8A0000
	ds_read_b32 v64, v7 offset:20992                           // 000000020424: D86C5200 40000007
	ds_read_b32 v65, v7 offset:21056                           // 00000002042C: D86C5240 41000007
	ds_read_b32 v66, v7 offset:21120                           // 000000020434: D86C5280 42000007
	ds_read_b32 v67, v7 offset:21184                           // 00000002043C: D86C52C0 43000007
	ds_read_b32 v68, v7 offset:21248                           // 000000020444: D86C5300 44000007
	ds_read_b32 v69, v7 offset:21312                           // 00000002044C: D86C5340 45000007
	ds_read_b32 v70, v7 offset:21376                           // 000000020454: D86C5380 46000007
	ds_read_b32 v71, v7 offset:21440                           // 00000002045C: D86C53C0 47000007
	ds_read_b32 v72, v7 offset:21504                           // 000000020464: D86C5400 48000007
	ds_read_b32 v73, v7 offset:21568                           // 00000002046C: D86C5440 49000007
	ds_read_b32 v74, v7 offset:21632                           // 000000020474: D86C5480 4A000007
	ds_read_b32 v75, v7 offset:21696                           // 00000002047C: D86C54C0 4B000007
	ds_read_b32 v76, v7 offset:21760                           // 000000020484: D86C5500 4C000007
	ds_read_b32 v77, v7 offset:21824                           // 00000002048C: D86C5540 4D000007
	ds_read_b32 v78, v7 offset:21888                           // 000000020494: D86C5580 4E000007
	ds_read_b32 v79, v7 offset:21952                           // 00000002049C: D86C55C0 4F000007
	v_mul_f32_e32 v38, v49, v38                                // 0000000204A4: 0A4C4D31
	v_mov_b32_e32 v15, v112                                    // 0000000204A8: 7E1E0370
	v_add_f32_e32 v15, v113, v15                               // 0000000204AC: 021E1F71
	v_add_f32_e32 v15, v114, v15                               // 0000000204B0: 021E1F72
	v_add_f32_e32 v15, v115, v15                               // 0000000204B4: 021E1F73
	v_add_f32_e32 v15, v116, v15                               // 0000000204B8: 021E1F74
	v_add_f32_e32 v15, v117, v15                               // 0000000204BC: 021E1F75
	v_add_f32_e32 v15, v118, v15                               // 0000000204C0: 021E1F76
	v_add_f32_e32 v15, v119, v15                               // 0000000204C4: 021E1F77
	v_add_f32_e32 v15, v120, v15                               // 0000000204C8: 021E1F78
	v_add_f32_e32 v15, v121, v15                               // 0000000204CC: 021E1F79
	v_add_f32_e32 v15, v122, v15                               // 0000000204D0: 021E1F7A
	v_add_f32_e32 v15, v123, v15                               // 0000000204D4: 021E1F7B
	v_add_f32_e32 v15, v124, v15                               // 0000000204D8: 021E1F7C
	v_add_f32_e32 v15, v125, v15                               // 0000000204DC: 021E1F7D
	v_add_f32_e32 v15, v126, v15                               // 0000000204E0: 021E1F7E
	v_add_f32_e32 v15, v127, v15                               // 0000000204E4: 021E1F7F
	v_add_f32_e32 v38, v15, v38                                // 0000000204E8: 024C4D0F
	s_waitcnt lgkmcnt(0)                                       // 0000000204EC: BF8CC07F
	v_max3_f32 v48, |v64|, |v65|, v48                          // 0000000204F0: D1D30330 04C28340
	v_max3_f32 v48, |v66|, |v67|, v48                          // 0000000204F8: D1D30330 04C28742
	v_max3_f32 v48, |v68|, |v69|, v48                          // 000000020500: D1D30330 04C28B44
	v_max3_f32 v48, |v70|, |v71|, v48                          // 000000020508: D1D30330 04C28F46
	v_max3_f32 v48, |v72|, |v73|, v48                          // 000000020510: D1D30330 04C29348
	v_max3_f32 v48, |v74|, |v75|, v48                          // 000000020518: D1D30330 04C2974A
	v_max3_f32 v48, |v76|, |v77|, v48                          // 000000020520: D1D30330 04C29B4C
	v_max3_f32 v48, |v78|, |v79|, v48                          // 000000020528: D1D30330 04C29F4E
	s_nop 2                                                    // 000000020530: BF800002
	v_rcp_f32_e32 v48, v48                                     // 000000020534: 7E604530
	s_nop 1                                                    // 000000020538: BF800001
	v_mul_f32_e32 v48, 0x42fe0000, v48                         // 00000002053C: 0A6060FF 42FE0000
	v_mul_f32_e32 v112, v48, v240                              // 000000020544: 0AE1E130
	v_mul_f32_e32 v113, v48, v241                              // 000000020548: 0AE3E330
	v_mul_f32_e32 v114, v48, v242                              // 00000002054C: 0AE5E530
	v_mul_f32_e32 v115, v48, v243                              // 000000020550: 0AE7E730
	v_mul_f32_e32 v116, v48, v244                              // 000000020554: 0AE9E930
	v_mul_f32_e32 v117, v48, v245                              // 000000020558: 0AEBEB30
	v_mul_f32_e32 v118, v48, v246                              // 00000002055C: 0AEDED30
	v_mul_f32_e32 v119, v48, v247                              // 000000020560: 0AEFEF30
	v_mul_f32_e32 v120, v48, v248                              // 000000020564: 0AF1F130
	v_mul_f32_e32 v121, v48, v249                              // 000000020568: 0AF3F330
	v_mul_f32_e32 v122, v48, v250                              // 00000002056C: 0AF5F530
	v_mul_f32_e32 v123, v48, v251                              // 000000020570: 0AF7F730
	v_mul_f32_e32 v124, v48, v252                              // 000000020574: 0AF9F930
	v_mul_f32_e32 v125, v48, v253                              // 000000020578: 0AFBFB30
	v_mul_f32_e32 v126, v48, v254                              // 00000002057C: 0AFDFD30
	v_mul_f32_e32 v127, v48, v255                              // 000000020580: 0AFFFF30
	v_cvt_i32_f32_e32 v112, v112                               // 000000020584: 7EE01170
	v_cvt_i32_f32_e32 v113, v113                               // 000000020588: 7EE21171
	v_cvt_i32_f32_e32 v114, v114                               // 00000002058C: 7EE41172
	v_cvt_i32_f32_e32 v115, v115                               // 000000020590: 7EE61173
	v_cvt_i32_f32_e32 v116, v116                               // 000000020594: 7EE81174
	v_cvt_i32_f32_e32 v117, v117                               // 000000020598: 7EEA1175
	v_cvt_i32_f32_e32 v118, v118                               // 00000002059C: 7EEC1176
	v_cvt_i32_f32_e32 v119, v119                               // 0000000205A0: 7EEE1177
	v_cvt_i32_f32_e32 v120, v120                               // 0000000205A4: 7EF01178
	v_cvt_i32_f32_e32 v121, v121                               // 0000000205A8: 7EF21179
	v_cvt_i32_f32_e32 v122, v122                               // 0000000205AC: 7EF4117A
	v_cvt_i32_f32_e32 v123, v123                               // 0000000205B0: 7EF6117B
	v_cvt_i32_f32_e32 v124, v124                               // 0000000205B4: 7EF8117C
	v_cvt_i32_f32_e32 v125, v125                               // 0000000205B8: 7EFA117D
	v_cvt_i32_f32_e32 v126, v126                               // 0000000205BC: 7EFC117E
	v_cvt_i32_f32_e32 v127, v127                               // 0000000205C0: 7EFE117F
	v_perm_b32 v112, v113, v112, s53                           // 0000000205C4: D1ED0070 00D6E171
	v_perm_b32 v112, v114, v112, s54                           // 0000000205CC: D1ED0070 00DAE172
	v_perm_b32 v112, v115, v112, s55                           // 0000000205D4: D1ED0070 00DEE173
	v_perm_b32 v113, v117, v116, s53                           // 0000000205DC: D1ED0071 00D6E975
	v_perm_b32 v113, v118, v113, s54                           // 0000000205E4: D1ED0071 00DAE376
	v_perm_b32 v113, v119, v113, s55                           // 0000000205EC: D1ED0071 00DEE377
	v_perm_b32 v114, v121, v120, s53                           // 0000000205F4: D1ED0072 00D6F179
	v_perm_b32 v114, v122, v114, s54                           // 0000000205FC: D1ED0072 00DAE57A
	v_perm_b32 v114, v123, v114, s55                           // 000000020604: D1ED0072 00DEE57B
	v_perm_b32 v115, v125, v124, s53                           // 00000002060C: D1ED0073 00D6F97D
	v_perm_b32 v115, v126, v115, s54                           // 000000020614: D1ED0073 00DAE77E
	v_perm_b32 v115, v127, v115, s55                           // 00000002061C: D1ED0073 00DEE77F
	ds_write_b32 v10, v112 offset:25088                        // 000000020624: D81A6200 0000700A
	ds_write_b32 v10, v113 offset:26112                        // 00000002062C: D81A6600 0000710A
	ds_write_b32 v10, v114 offset:27136                        // 000000020634: D81A6A00 0000720A
	ds_write_b32 v10, v115 offset:28160                        // 00000002063C: D81A6E00 0000730A
	v_add_f32_e32 v208, v208, v176                             // 000000020644: 03A161D0
	v_add_f32_e32 v209, v209, v177                             // 000000020648: 03A363D1
	v_add_f32_e32 v210, v210, v178                             // 00000002064C: 03A565D2
	v_add_f32_e32 v211, v211, v179                             // 000000020650: 03A767D3
	v_add_f32_e32 v212, v212, v180                             // 000000020654: 03A969D4
	v_add_f32_e32 v213, v213, v181                             // 000000020658: 03AB6BD5
	v_add_f32_e32 v214, v214, v182                             // 00000002065C: 03AD6DD6
	v_add_f32_e32 v215, v215, v183                             // 000000020660: 03AF6FD7
	v_rcp_f32_e32 v44, v48                                     // 000000020664: 7E584530
	s_waitcnt lgkmcnt(0)                                       // 000000020668: BF8CC07F
	s_barrier                                                  // 00000002066C: BF8A0000
	ds_read_b64 v[112:113], v9 offset:25088                    // 000000020670: D8EC6200 70000009
	ds_read_b64 v[114:115], v9 offset:25216                    // 000000020678: D8EC6280 72000009
	ds_read_b64 v[116:117], v9 offset:26112                    // 000000020680: D8EC6600 74000009
	ds_read_b64 v[118:119], v9 offset:26240                    // 000000020688: D8EC6680 76000009
	ds_read_b64 v[120:121], v9 offset:27136                    // 000000020690: D8EC6A00 78000009
	ds_read_b64 v[122:123], v9 offset:27264                    // 000000020698: D8EC6A80 7A000009
	ds_read_b64 v[124:125], v9 offset:28160                    // 0000000206A0: D8EC6E00 7C000009
	ds_read_b64 v[126:127], v9 offset:28288                    // 0000000206A8: D8EC6E80 7E000009
	v_mov_b32_dpp v64, v42 row_shr:4 row_mask:0xf bank_mask:0xf// 0000000206B0: 7E8002FA FF01142A
	v_mov_b32_dpp v65, v42 row_shl:4 row_mask:0xf bank_mask:0xf// 0000000206B8: 7E8202FA FF01042A
	v_cndmask_b32_e64 v248, v42, v64, s[44:45]                 // 0000000206C0: D10000F8 00B2812A
	v_cndmask_b32_e64 v249, v65, v42, s[44:45]                 // 0000000206C8: D10000F9 00B25541
	v_mov_b32_dpp v64, v248 row_shr:8 row_mask:0xf bank_mask:0xf// 0000000206D0: 7E8002FA FF0118F8
	v_mov_b32_dpp v65, v248 row_shl:8 row_mask:0xf bank_mask:0xf// 0000000206D8: 7E8202FA FF0108F8
	v_mov_b32_dpp v66, v249 row_shr:8 row_mask:0xf bank_mask:0xf// 0000000206E0: 7E8402FA FF0118F9
	v_mov_b32_dpp v67, v249 row_shl:8 row_mask:0xf bank_mask:0xf// 0000000206E8: 7E8602FA FF0108F9
	v_mov_b32_e32 v68, v248                                    // 0000000206F0: 7E8803F8
	v_mov_b32_e32 v69, v249                                    // 0000000206F4: 7E8A03F9
	v_cndmask_b32_e64 v248, v68, v64, s[42:43]                 // 0000000206F8: D10000F8 00AA8144
	v_cndmask_b32_e64 v250, v68, v65, s[78:79]                 // 000000020700: D10000FA 013A8344
	v_cndmask_b32_e64 v249, v69, v66, s[42:43]                 // 000000020708: D10000F9 00AA8545
	v_cndmask_b32_e64 v251, v69, v67, s[78:79]                 // 000000020710: D10000FB 013A8745
	v_mov_b32_dpp v64, v57 row_shr:4 row_mask:0xf bank_mask:0xf// 000000020718: 7E8002FA FF011439
	v_mov_b32_dpp v65, v57 row_shl:4 row_mask:0xf bank_mask:0xf// 000000020720: 7E8202FA FF010439
	v_cndmask_b32_e64 v252, v57, v64, s[44:45]                 // 000000020728: D10000FC 00B28139
	v_cndmask_b32_e64 v253, v65, v57, s[44:45]                 // 000000020730: D10000FD 00B27341
	v_mov_b32_dpp v64, v252 row_shr:8 row_mask:0xf bank_mask:0xf// 000000020738: 7E8002FA FF0118FC
	v_mov_b32_dpp v65, v252 row_shl:8 row_mask:0xf bank_mask:0xf// 000000020740: 7E8202FA FF0108FC
	v_mov_b32_dpp v66, v253 row_shr:8 row_mask:0xf bank_mask:0xf// 000000020748: 7E8402FA FF0118FD
	v_mov_b32_dpp v67, v253 row_shl:8 row_mask:0xf bank_mask:0xf// 000000020750: 7E8602FA FF0108FD
	v_mov_b32_e32 v68, v252                                    // 000000020758: 7E8803FC
	v_mov_b32_e32 v69, v253                                    // 00000002075C: 7E8A03FD
	v_cndmask_b32_e64 v252, v68, v64, s[42:43]                 // 000000020760: D10000FC 00AA8144
	v_cndmask_b32_e64 v254, v68, v65, s[78:79]                 // 000000020768: D10000FE 013A8344
	v_cndmask_b32_e64 v253, v69, v66, s[42:43]                 // 000000020770: D10000FD 00AA8545
	v_cndmask_b32_e64 v255, v69, v67, s[78:79]                 // 000000020778: D10000FF 013A8745
	v_cvt_f32_i32_e32 v128, v128                               // 000000020780: 7F000B80
	v_cvt_f32_i32_e32 v129, v129                               // 000000020784: 7F020B81
	v_cvt_f32_i32_e32 v130, v130                               // 000000020788: 7F040B82
	v_cvt_f32_i32_e32 v131, v131                               // 00000002078C: 7F060B83
	v_cvt_f32_i32_e32 v132, v132                               // 000000020790: 7F080B84
	v_cvt_f32_i32_e32 v133, v133                               // 000000020794: 7F0A0B85
	v_cvt_f32_i32_e32 v134, v134                               // 000000020798: 7F0C0B86
	v_cvt_f32_i32_e32 v135, v135                               // 00000002079C: 7F0E0B87
	v_cvt_f32_i32_e32 v136, v136                               // 0000000207A0: 7F100B88
	v_cvt_f32_i32_e32 v137, v137                               // 0000000207A4: 7F120B89
	v_cvt_f32_i32_e32 v138, v138                               // 0000000207A8: 7F140B8A
	v_cvt_f32_i32_e32 v139, v139                               // 0000000207AC: 7F160B8B
	v_cvt_f32_i32_e32 v140, v140                               // 0000000207B0: 7F180B8C
	v_cvt_f32_i32_e32 v141, v141                               // 0000000207B4: 7F1A0B8D
	v_cvt_f32_i32_e32 v142, v142                               // 0000000207B8: 7F1C0B8E
	v_cvt_f32_i32_e32 v143, v143                               // 0000000207BC: 7F1E0B8F
	v_mul_f32_e32 v128, v19, v128                              // 0000000207C0: 0B010113
	v_mul_f32_e32 v129, v19, v129                              // 0000000207C4: 0B030313
	v_mul_f32_e32 v130, v19, v130                              // 0000000207C8: 0B050513
	v_mul_f32_e32 v131, v19, v131                              // 0000000207CC: 0B070713
	v_mul_f32_e32 v132, v19, v132                              // 0000000207D0: 0B090913
	v_mul_f32_e32 v133, v19, v133                              // 0000000207D4: 0B0B0B13
	v_mul_f32_e32 v134, v19, v134                              // 0000000207D8: 0B0D0D13
	v_mul_f32_e32 v135, v19, v135                              // 0000000207DC: 0B0F0F13
	v_mul_f32_e32 v136, v19, v136                              // 0000000207E0: 0B111113
	v_mul_f32_e32 v137, v19, v137                              // 0000000207E4: 0B131313
	v_mul_f32_e32 v138, v19, v138                              // 0000000207E8: 0B151513
	v_mul_f32_e32 v139, v19, v139                              // 0000000207EC: 0B171713
	v_mul_f32_e32 v140, v19, v140                              // 0000000207F0: 0B191913
	v_mul_f32_e32 v141, v19, v141                              // 0000000207F4: 0B1B1B13
	v_mul_f32_e32 v142, v19, v142                              // 0000000207F8: 0B1D1D13
	v_mul_f32_e32 v143, v19, v143                              // 0000000207FC: 0B1F1F13
	v_mul_f32_dpp v128, v248, v128 quad_perm:[0,0,0,0] row_mask:0xf bank_mask:0xf// 000000020800: 0B0100FA FF0000F8
	v_mul_f32_dpp v129, v248, v129 quad_perm:[1,1,1,1] row_mask:0xf bank_mask:0xf// 000000020808: 0B0302FA FF0055F8
	v_mul_f32_dpp v130, v248, v130 quad_perm:[2,2,2,2] row_mask:0xf bank_mask:0xf// 000000020810: 0B0504FA FF00AAF8
	v_mul_f32_dpp v131, v248, v131 quad_perm:[3,3,3,3] row_mask:0xf bank_mask:0xf// 000000020818: 0B0706FA FF00FFF8
	v_mul_f32_dpp v132, v249, v132 quad_perm:[0,0,0,0] row_mask:0xf bank_mask:0xf// 000000020820: 0B0908FA FF0000F9
	v_mul_f32_dpp v133, v249, v133 quad_perm:[1,1,1,1] row_mask:0xf bank_mask:0xf// 000000020828: 0B0B0AFA FF0055F9
	v_mul_f32_dpp v134, v249, v134 quad_perm:[2,2,2,2] row_mask:0xf bank_mask:0xf// 000000020830: 0B0D0CFA FF00AAF9
	v_mul_f32_dpp v135, v249, v135 quad_perm:[3,3,3,3] row_mask:0xf bank_mask:0xf// 000000020838: 0B0F0EFA FF00FFF9
	v_mul_f32_dpp v136, v250, v136 quad_perm:[0,0,0,0] row_mask:0xf bank_mask:0xf// 000000020840: 0B1110FA FF0000FA
	v_mul_f32_dpp v137, v250, v137 quad_perm:[1,1,1,1] row_mask:0xf bank_mask:0xf// 000000020848: 0B1312FA FF0055FA
	v_mul_f32_dpp v138, v250, v138 quad_perm:[2,2,2,2] row_mask:0xf bank_mask:0xf// 000000020850: 0B1514FA FF00AAFA
	v_mul_f32_dpp v139, v250, v139 quad_perm:[3,3,3,3] row_mask:0xf bank_mask:0xf// 000000020858: 0B1716FA FF00FFFA
	v_mul_f32_dpp v140, v251, v140 quad_perm:[0,0,0,0] row_mask:0xf bank_mask:0xf// 000000020860: 0B1918FA FF0000FB
	v_mul_f32_dpp v141, v251, v141 quad_perm:[1,1,1,1] row_mask:0xf bank_mask:0xf// 000000020868: 0B1B1AFA FF0055FB
	v_mul_f32_dpp v142, v251, v142 quad_perm:[2,2,2,2] row_mask:0xf bank_mask:0xf// 000000020870: 0B1D1CFA FF00AAFB
	v_mul_f32_dpp v143, v251, v143 quad_perm:[3,3,3,3] row_mask:0xf bank_mask:0xf// 000000020878: 0B1F1EFA FF00FFFB
	s_cmp_le_i32 s90, s89                                      // 000000020880: BF05595A
	s_cbranch_scc1 label_7A13                                  // 000000020884: BF850071
	v_mov_b32_e32 v66, 0xff800000                              // 000000020888: 7E8402FF FF800000
	s_mov_b32 s60, s90                                         // 000000020890: BEBC005A
	s_add_u32 s61, s89, 0xff                                   // 000000020894: 803DFF59 000000FF
	v_mov_b32_e32 v64, s61                                     // 00000002089C: 7E80023D
	v_lshrrev_b32_e32 v240, 4, v0                              // 0000000208A0: 21E00084
	v_mul_i32_i24_e32 v240, 4, v240                            // 0000000208A4: 0DE1E084
	v_add_u32_e32 v240, s60, v240                              // 0000000208A8: 69E1E03C
	s_mov_b32 s61, 1                                           // 0000000208AC: BEBD0081
	s_mul_i32 s60, 16, s7                                      // 0000000208B0: 923C0790
	v_sub_u32_e64 v240, v240, s61                              // 0000000208B4: D13500F0 00007BF0
	v_add_u32_e32 v240, s60, v240                              // 0000000208BC: 69E1E03C
	v_add_u32_e32 v241, 1, v240                                // 0000000208C0: 69E3E081
	v_add_u32_e32 v242, 2, v240                                // 0000000208C4: 69E5E082
	v_add_u32_e32 v243, 3, v240                                // 0000000208C8: 69E7E083
	v_cmp_le_u32_e64 s[40:41], v240, v64                       // 0000000208CC: D0CB0028 000281F0
	v_add_u32_e32 v240, 64, v240                               // 0000000208D4: 69E1E0C0
	s_nop 0                                                    // 0000000208D8: BF800000
	v_cndmask_b32_e64 v128, v66, v128, s[40:41]                // 0000000208DC: D1000080 00A30142
	v_cmp_le_u32_e64 s[40:41], v241, v64                       // 0000000208E4: D0CB0028 000281F1
	v_add_u32_e32 v241, 64, v241                               // 0000000208EC: 69E3E2C0
	s_nop 0                                                    // 0000000208F0: BF800000
	v_cndmask_b32_e64 v129, v66, v129, s[40:41]                // 0000000208F4: D1000081 00A30342
	v_cmp_le_u32_e64 s[40:41], v242, v64                       // 0000000208FC: D0CB0028 000281F2
	v_add_u32_e32 v242, 64, v242                               // 000000020904: 69E5E4C0
	s_nop 0                                                    // 000000020908: BF800000
	v_cndmask_b32_e64 v130, v66, v130, s[40:41]                // 00000002090C: D1000082 00A30542
	v_cmp_le_u32_e64 s[40:41], v243, v64                       // 000000020914: D0CB0028 000281F3
	v_add_u32_e32 v243, 64, v243                               // 00000002091C: 69E7E6C0
	s_nop 0                                                    // 000000020920: BF800000
	v_cndmask_b32_e64 v131, v66, v131, s[40:41]                // 000000020924: D1000083 00A30742
	v_cmp_le_u32_e64 s[40:41], v240, v64                       // 00000002092C: D0CB0028 000281F0
	v_add_u32_e32 v240, 64, v240                               // 000000020934: 69E1E0C0
	s_nop 0                                                    // 000000020938: BF800000
	v_cndmask_b32_e64 v132, v66, v132, s[40:41]                // 00000002093C: D1000084 00A30942
	v_cmp_le_u32_e64 s[40:41], v241, v64                       // 000000020944: D0CB0028 000281F1
	v_add_u32_e32 v241, 64, v241                               // 00000002094C: 69E3E2C0
	s_nop 0                                                    // 000000020950: BF800000
	v_cndmask_b32_e64 v133, v66, v133, s[40:41]                // 000000020954: D1000085 00A30B42
	v_cmp_le_u32_e64 s[40:41], v242, v64                       // 00000002095C: D0CB0028 000281F2
	v_add_u32_e32 v242, 64, v242                               // 000000020964: 69E5E4C0
	s_nop 0                                                    // 000000020968: BF800000
	v_cndmask_b32_e64 v134, v66, v134, s[40:41]                // 00000002096C: D1000086 00A30D42
	v_cmp_le_u32_e64 s[40:41], v243, v64                       // 000000020974: D0CB0028 000281F3
	v_add_u32_e32 v243, 64, v243                               // 00000002097C: 69E7E6C0
	s_nop 0                                                    // 000000020980: BF800000
	v_cndmask_b32_e64 v135, v66, v135, s[40:41]                // 000000020984: D1000087 00A30F42
	v_cmp_le_u32_e64 s[40:41], v240, v64                       // 00000002098C: D0CB0028 000281F0
	v_add_u32_e32 v240, 64, v240                               // 000000020994: 69E1E0C0
	s_nop 0                                                    // 000000020998: BF800000
	v_cndmask_b32_e64 v136, v66, v136, s[40:41]                // 00000002099C: D1000088 00A31142
	v_cmp_le_u32_e64 s[40:41], v241, v64                       // 0000000209A4: D0CB0028 000281F1
	v_add_u32_e32 v241, 64, v241                               // 0000000209AC: 69E3E2C0
	s_nop 0                                                    // 0000000209B0: BF800000
	v_cndmask_b32_e64 v137, v66, v137, s[40:41]                // 0000000209B4: D1000089 00A31342
	v_cmp_le_u32_e64 s[40:41], v242, v64                       // 0000000209BC: D0CB0028 000281F2
	v_add_u32_e32 v242, 64, v242                               // 0000000209C4: 69E5E4C0
	s_nop 0                                                    // 0000000209C8: BF800000
	v_cndmask_b32_e64 v138, v66, v138, s[40:41]                // 0000000209CC: D100008A 00A31542
	v_cmp_le_u32_e64 s[40:41], v243, v64                       // 0000000209D4: D0CB0028 000281F3
	v_add_u32_e32 v243, 64, v243                               // 0000000209DC: 69E7E6C0
	s_nop 0                                                    // 0000000209E0: BF800000
	v_cndmask_b32_e64 v139, v66, v139, s[40:41]                // 0000000209E4: D100008B 00A31742
	v_cmp_le_u32_e64 s[40:41], v240, v64                       // 0000000209EC: D0CB0028 000281F0
	v_add_u32_e32 v240, 64, v240                               // 0000000209F4: 69E1E0C0
	s_nop 0                                                    // 0000000209F8: BF800000
	v_cndmask_b32_e64 v140, v66, v140, s[40:41]                // 0000000209FC: D100008C 00A31942
	v_cmp_le_u32_e64 s[40:41], v241, v64                       // 000000020A04: D0CB0028 000281F1
	v_add_u32_e32 v241, 64, v241                               // 000000020A0C: 69E3E2C0
	s_nop 0                                                    // 000000020A10: BF800000
	v_cndmask_b32_e64 v141, v66, v141, s[40:41]                // 000000020A14: D100008D 00A31B42
	v_cmp_le_u32_e64 s[40:41], v242, v64                       // 000000020A1C: D0CB0028 000281F2
	v_add_u32_e32 v242, 64, v242                               // 000000020A24: 69E5E4C0
	s_nop 0                                                    // 000000020A28: BF800000
	v_cndmask_b32_e64 v142, v66, v142, s[40:41]                // 000000020A2C: D100008E 00A31D42
	v_cmp_le_u32_e64 s[40:41], v243, v64                       // 000000020A34: D0CB0028 000281F3
	v_add_u32_e32 v243, 64, v243                               // 000000020A3C: 69E7E6C0
	s_nop 0                                                    // 000000020A40: BF800000
	v_cndmask_b32_e64 v143, v66, v143, s[40:41]                // 000000020A44: D100008F 00A31F42

0000000000020a4c <label_7A13>:
	v_mov_b32_e32 v48, v128                                    // 000000020A4C: 7E600380
	v_max3_f32 v48, v128, v129, v48                            // 000000020A50: D1D30030 04C30380
	v_max3_f32 v48, v130, v131, v48                            // 000000020A58: D1D30030 04C30782
	v_max3_f32 v48, v132, v133, v48                            // 000000020A60: D1D30030 04C30B84
	v_max3_f32 v48, v134, v135, v48                            // 000000020A68: D1D30030 04C30F86
	v_max3_f32 v48, v136, v137, v48                            // 000000020A70: D1D30030 04C31388
	v_max3_f32 v48, v138, v139, v48                            // 000000020A78: D1D30030 04C3178A
	v_max3_f32 v48, v140, v141, v48                            // 000000020A80: D1D30030 04C31B8C
	v_max3_f32 v48, v142, v143, v48                            // 000000020A88: D1D30030 04C31F8E
	ds_write_b32 v8, v48 offset:16896                          // 000000020A90: D81A4200 00003008
	v_mul_f32_e32 v216, v50, v216                              // 000000020A98: 0BB1B132
	v_mul_f32_e32 v217, v50, v217                              // 000000020A9C: 0BB3B332
	v_mul_f32_e32 v218, v50, v218                              // 000000020AA0: 0BB5B532
	v_mul_f32_e32 v219, v50, v219                              // 000000020AA4: 0BB7B732
	v_mul_f32_e32 v220, v50, v220                              // 000000020AA8: 0BB9B932
	v_mul_f32_e32 v221, v50, v221                              // 000000020AAC: 0BBBBB32
	v_mul_f32_e32 v222, v50, v222                              // 000000020AB0: 0BBDBD32
	v_mul_f32_e32 v223, v50, v223                              // 000000020AB4: 0BBFBF32
	s_waitcnt lgkmcnt(0)                                       // 000000020AB8: BF8CC07F
	s_barrier                                                  // 000000020ABC: BF8A0000
	ds_read_b32 v64, v7 offset:16896                           // 000000020AC0: D86C4200 40000007
	ds_read_b32 v65, v7 offset:16960                           // 000000020AC8: D86C4240 41000007
	ds_read_b32 v66, v7 offset:17024                           // 000000020AD0: D86C4280 42000007
	ds_read_b32 v67, v7 offset:17088                           // 000000020AD8: D86C42C0 43000007
	ds_read_b32 v68, v7 offset:17152                           // 000000020AE0: D86C4300 44000007
	ds_read_b32 v69, v7 offset:17216                           // 000000020AE8: D86C4340 45000007
	ds_read_b32 v70, v7 offset:17280                           // 000000020AF0: D86C4380 46000007
	ds_read_b32 v71, v7 offset:17344                           // 000000020AF8: D86C43C0 47000007
	ds_read_b32 v72, v7 offset:17408                           // 000000020B00: D86C4400 48000007
	ds_read_b32 v73, v7 offset:17472                           // 000000020B08: D86C4440 49000007
	ds_read_b32 v74, v7 offset:17536                           // 000000020B10: D86C4480 4A000007
	ds_read_b32 v75, v7 offset:17600                           // 000000020B18: D86C44C0 4B000007
	ds_read_b32 v76, v7 offset:17664                           // 000000020B20: D86C4500 4C000007
	ds_read_b32 v77, v7 offset:17728                           // 000000020B28: D86C4540 4D000007
	ds_read_b32 v78, v7 offset:17792                           // 000000020B30: D86C4580 4E000007
	ds_read_b32 v79, v7 offset:17856                           // 000000020B38: D86C45C0 4F000007
	v_cvt_f32_i32_e32 v184, v184                               // 000000020B40: 7F700BB8
	v_cvt_f32_i32_e32 v185, v185                               // 000000020B44: 7F720BB9
	v_cvt_f32_i32_e32 v186, v186                               // 000000020B48: 7F740BBA
	v_cvt_f32_i32_e32 v187, v187                               // 000000020B4C: 7F760BBB
	v_cvt_f32_i32_e32 v188, v188                               // 000000020B50: 7F780BBC
	v_cvt_f32_i32_e32 v189, v189                               // 000000020B54: 7F7A0BBD
	v_cvt_f32_i32_e32 v190, v190                               // 000000020B58: 7F7C0BBE
	v_cvt_f32_i32_e32 v191, v191                               // 000000020B5C: 7F7E0BBF
	v_mul_f32_e32 v184, v45, v184                              // 000000020B60: 0B71712D
	v_mul_f32_e32 v185, v45, v185                              // 000000020B64: 0B73732D
	v_mul_f32_e32 v186, v45, v186                              // 000000020B68: 0B75752D
	v_mul_f32_e32 v187, v45, v187                              // 000000020B6C: 0B77772D
	v_mul_f32_e32 v188, v45, v188                              // 000000020B70: 0B79792D
	v_mul_f32_e32 v189, v45, v189                              // 000000020B74: 0B7B7B2D
	v_mul_f32_e32 v190, v45, v190                              // 000000020B78: 0B7D7D2D
	v_mul_f32_e32 v191, v45, v191                              // 000000020B7C: 0B7F7F2D
	s_waitcnt lgkmcnt(0)                                       // 000000020B80: BF8CC07F
	v_max3_f32 v48, v64, v65, v48                              // 000000020B84: D1D30030 04C28340
	v_max3_f32 v48, v66, v67, v48                              // 000000020B8C: D1D30030 04C28742
	v_max3_f32 v48, v68, v69, v48                              // 000000020B94: D1D30030 04C28B44
	v_max3_f32 v48, v70, v71, v48                              // 000000020B9C: D1D30030 04C28F46
	v_max3_f32 v48, v72, v73, v48                              // 000000020BA4: D1D30030 04C29348
	v_max3_f32 v48, v74, v75, v48                              // 000000020BAC: D1D30030 04C2974A
	v_max3_f32 v48, v76, v77, v48                              // 000000020BB4: D1D30030 04C29B4C
	v_max3_f32 v48, v78, v79, v48                              // 000000020BBC: D1D30030 04C29F4E
	v_mov_b32_e32 v64, 0xff800000                              // 000000020BC4: 7E8002FF FF800000
	v_cmp_eq_u32_e64 s[40:41], v64, v12                        // 000000020BCC: D0CA0028 00021940
	s_nop 1                                                    // 000000020BD4: BF800001
	v_max_f32_e32 v15, v48, v12                                // 000000020BD8: 161E1930
	v_mul_f32_e32 v53, s64, v15                                // 000000020BDC: 0A6A1E40
	v_fma_f32 v128, v128, s64, -v53                            // 000000020BE0: D1CB0080 84D48180
	v_fma_f32 v129, v129, s64, -v53                            // 000000020BE8: D1CB0081 84D48181
	v_fma_f32 v130, v130, s64, -v53                            // 000000020BF0: D1CB0082 84D48182
	v_fma_f32 v131, v131, s64, -v53                            // 000000020BF8: D1CB0083 84D48183
	v_fma_f32 v132, v132, s64, -v53                            // 000000020C00: D1CB0084 84D48184
	v_fma_f32 v133, v133, s64, -v53                            // 000000020C08: D1CB0085 84D48185
	v_fma_f32 v134, v134, s64, -v53                            // 000000020C10: D1CB0086 84D48186
	v_fma_f32 v135, v135, s64, -v53                            // 000000020C18: D1CB0087 84D48187
	v_fma_f32 v136, v136, s64, -v53                            // 000000020C20: D1CB0088 84D48188
	v_fma_f32 v137, v137, s64, -v53                            // 000000020C28: D1CB0089 84D48189
	v_fma_f32 v138, v138, s64, -v53                            // 000000020C30: D1CB008A 84D4818A
	v_fma_f32 v139, v139, s64, -v53                            // 000000020C38: D1CB008B 84D4818B
	v_fma_f32 v140, v140, s64, -v53                            // 000000020C40: D1CB008C 84D4818C
	v_fma_f32 v141, v141, s64, -v53                            // 000000020C48: D1CB008D 84D4818D
	v_fma_f32 v142, v142, s64, -v53                            // 000000020C50: D1CB008E 84D4818E
	v_fma_f32 v143, v143, s64, -v53                            // 000000020C58: D1CB008F 84D4818F
	v_exp_f32_e32 v128, v128                                   // 000000020C60: 7F004180
	v_exp_f32_e32 v129, v129                                   // 000000020C64: 7F024181
	v_exp_f32_e32 v130, v130                                   // 000000020C68: 7F044182
	v_exp_f32_e32 v131, v131                                   // 000000020C6C: 7F064183
	v_exp_f32_e32 v132, v132                                   // 000000020C70: 7F084184
	v_exp_f32_e32 v133, v133                                   // 000000020C74: 7F0A4185
	v_exp_f32_e32 v134, v134                                   // 000000020C78: 7F0C4186
	v_exp_f32_e32 v135, v135                                   // 000000020C7C: 7F0E4187
	v_exp_f32_e32 v136, v136                                   // 000000020C80: 7F104188
	v_exp_f32_e32 v137, v137                                   // 000000020C84: 7F124189
	v_exp_f32_e32 v138, v138                                   // 000000020C88: 7F14418A
	v_exp_f32_e32 v139, v139                                   // 000000020C8C: 7F16418B
	v_exp_f32_e32 v140, v140                                   // 000000020C90: 7F18418C
	v_exp_f32_e32 v141, v141                                   // 000000020C94: 7F1A418D
	v_exp_f32_e32 v142, v142                                   // 000000020C98: 7F1C418E
	v_exp_f32_e32 v143, v143                                   // 000000020C9C: 7F1E418F
	v_mul_f32_dpp v240, v252, v128 quad_perm:[0,0,0,0] row_mask:0xf bank_mask:0xf// 000000020CA0: 0BE100FA FF0000FC
	v_mul_f32_dpp v241, v252, v129 quad_perm:[1,1,1,1] row_mask:0xf bank_mask:0xf// 000000020CA8: 0BE302FA FF0055FC
	v_mul_f32_dpp v242, v252, v130 quad_perm:[2,2,2,2] row_mask:0xf bank_mask:0xf// 000000020CB0: 0BE504FA FF00AAFC
	v_mul_f32_dpp v243, v252, v131 quad_perm:[3,3,3,3] row_mask:0xf bank_mask:0xf// 000000020CB8: 0BE706FA FF00FFFC
	v_mul_f32_dpp v244, v253, v132 quad_perm:[0,0,0,0] row_mask:0xf bank_mask:0xf// 000000020CC0: 0BE908FA FF0000FD
	v_mul_f32_dpp v245, v253, v133 quad_perm:[1,1,1,1] row_mask:0xf bank_mask:0xf// 000000020CC8: 0BEB0AFA FF0055FD
	v_mul_f32_dpp v246, v253, v134 quad_perm:[2,2,2,2] row_mask:0xf bank_mask:0xf// 000000020CD0: 0BED0CFA FF00AAFD
	v_mul_f32_dpp v247, v253, v135 quad_perm:[3,3,3,3] row_mask:0xf bank_mask:0xf// 000000020CD8: 0BEF0EFA FF00FFFD
	v_mul_f32_dpp v248, v254, v136 quad_perm:[0,0,0,0] row_mask:0xf bank_mask:0xf// 000000020CE0: 0BF110FA FF0000FE
	v_mul_f32_dpp v249, v254, v137 quad_perm:[1,1,1,1] row_mask:0xf bank_mask:0xf// 000000020CE8: 0BF312FA FF0055FE
	v_mul_f32_dpp v250, v254, v138 quad_perm:[2,2,2,2] row_mask:0xf bank_mask:0xf// 000000020CF0: 0BF514FA FF00AAFE
	v_mul_f32_dpp v251, v254, v139 quad_perm:[3,3,3,3] row_mask:0xf bank_mask:0xf// 000000020CF8: 0BF716FA FF00FFFE
	v_mul_f32_dpp v252, v255, v140 quad_perm:[0,0,0,0] row_mask:0xf bank_mask:0xf// 000000020D00: 0BF918FA FF0000FF
	v_mul_f32_dpp v253, v255, v141 quad_perm:[1,1,1,1] row_mask:0xf bank_mask:0xf// 000000020D08: 0BFB1AFA FF0055FF
	v_mul_f32_dpp v254, v255, v142 quad_perm:[2,2,2,2] row_mask:0xf bank_mask:0xf// 000000020D10: 0BFD1CFA FF00AAFF
	v_mul_f32_dpp v255, v255, v143 quad_perm:[3,3,3,3] row_mask:0xf bank_mask:0xf// 000000020D18: 0BFF1EFA FF00FFFF
	v_mov_b32_e32 v48, 0x358637bd                              // 000000020D20: 7E6002FF 358637BD
	v_max3_f32 v48, |v240|, |v241|, v48                        // 000000020D28: D1D30330 04C3E3F0
	v_max3_f32 v48, |v242|, |v243|, v48                        // 000000020D30: D1D30330 04C3E7F2
	v_max3_f32 v48, |v244|, |v245|, v48                        // 000000020D38: D1D30330 04C3EBF4
	v_max3_f32 v48, |v246|, |v247|, v48                        // 000000020D40: D1D30330 04C3EFF6
	v_max3_f32 v48, |v248|, |v249|, v48                        // 000000020D48: D1D30330 04C3F3F8
	v_max3_f32 v48, |v250|, |v251|, v48                        // 000000020D50: D1D30330 04C3F7FA
	v_max3_f32 v48, |v252|, |v253|, v48                        // 000000020D58: D1D30330 04C3FBFC
	v_max3_f32 v48, |v254|, |v255|, v48                        // 000000020D60: D1D30330 04C3FFFE
	ds_write_b32 v8, v48 offset:20992                          // 000000020D68: D81A5200 00003008
	v_sub_f32_e32 v50, v12, v15                                // 000000020D70: 04641F0C
	v_cndmask_b32_e64 v50, v50, 0, s[40:41]                    // 000000020D74: D1000032 00A10132
	v_mov_b32_e32 v12, v15                                     // 000000020D7C: 7E18030F
	v_mul_f32_e32 v50, s64, v50                                // 000000020D80: 0A646440
	v_exp_f32_e32 v50, v50                                     // 000000020D84: 7E644132
	s_waitcnt lgkmcnt(0)                                       // 000000020D88: BF8CC07F
	s_barrier                                                  // 000000020D8C: BF8A0000
	ds_read_b32 v64, v7 offset:20992                           // 000000020D90: D86C5200 40000007
	ds_read_b32 v65, v7 offset:21056                           // 000000020D98: D86C5240 41000007
	ds_read_b32 v66, v7 offset:21120                           // 000000020DA0: D86C5280 42000007
	ds_read_b32 v67, v7 offset:21184                           // 000000020DA8: D86C52C0 43000007
	ds_read_b32 v68, v7 offset:21248                           // 000000020DB0: D86C5300 44000007
	ds_read_b32 v69, v7 offset:21312                           // 000000020DB8: D86C5340 45000007
	ds_read_b32 v70, v7 offset:21376                           // 000000020DC0: D86C5380 46000007
	ds_read_b32 v71, v7 offset:21440                           // 000000020DC8: D86C53C0 47000007
	ds_read_b32 v72, v7 offset:21504                           // 000000020DD0: D86C5400 48000007
	ds_read_b32 v73, v7 offset:21568                           // 000000020DD8: D86C5440 49000007
	ds_read_b32 v74, v7 offset:21632                           // 000000020DE0: D86C5480 4A000007
	ds_read_b32 v75, v7 offset:21696                           // 000000020DE8: D86C54C0 4B000007
	ds_read_b32 v76, v7 offset:21760                           // 000000020DF0: D86C5500 4C000007
	ds_read_b32 v77, v7 offset:21824                           // 000000020DF8: D86C5540 4D000007
	ds_read_b32 v78, v7 offset:21888                           // 000000020E00: D86C5580 4E000007
	ds_read_b32 v79, v7 offset:21952                           // 000000020E08: D86C55C0 4F000007
	v_mul_f32_e32 v39, v50, v39                                // 000000020E10: 0A4E4F32
	v_mov_b32_e32 v15, v128                                    // 000000020E14: 7E1E0380
	v_add_f32_e32 v15, v129, v15                               // 000000020E18: 021E1F81
	v_add_f32_e32 v15, v130, v15                               // 000000020E1C: 021E1F82
	v_add_f32_e32 v15, v131, v15                               // 000000020E20: 021E1F83
	v_add_f32_e32 v15, v132, v15                               // 000000020E24: 021E1F84
	v_add_f32_e32 v15, v133, v15                               // 000000020E28: 021E1F85
	v_add_f32_e32 v15, v134, v15                               // 000000020E2C: 021E1F86
	v_add_f32_e32 v15, v135, v15                               // 000000020E30: 021E1F87
	v_add_f32_e32 v15, v136, v15                               // 000000020E34: 021E1F88
	v_add_f32_e32 v15, v137, v15                               // 000000020E38: 021E1F89
	v_add_f32_e32 v15, v138, v15                               // 000000020E3C: 021E1F8A
	v_add_f32_e32 v15, v139, v15                               // 000000020E40: 021E1F8B
	v_add_f32_e32 v15, v140, v15                               // 000000020E44: 021E1F8C
	v_add_f32_e32 v15, v141, v15                               // 000000020E48: 021E1F8D
	v_add_f32_e32 v15, v142, v15                               // 000000020E4C: 021E1F8E
	v_add_f32_e32 v15, v143, v15                               // 000000020E50: 021E1F8F
	v_add_f32_e32 v39, v15, v39                                // 000000020E54: 024E4F0F
	s_waitcnt lgkmcnt(0)                                       // 000000020E58: BF8CC07F
	v_max3_f32 v48, |v64|, |v65|, v48                          // 000000020E5C: D1D30330 04C28340
	v_max3_f32 v48, |v66|, |v67|, v48                          // 000000020E64: D1D30330 04C28742
	v_max3_f32 v48, |v68|, |v69|, v48                          // 000000020E6C: D1D30330 04C28B44
	v_max3_f32 v48, |v70|, |v71|, v48                          // 000000020E74: D1D30330 04C28F46
	v_max3_f32 v48, |v72|, |v73|, v48                          // 000000020E7C: D1D30330 04C29348
	v_max3_f32 v48, |v74|, |v75|, v48                          // 000000020E84: D1D30330 04C2974A
	v_max3_f32 v48, |v76|, |v77|, v48                          // 000000020E8C: D1D30330 04C29B4C
	v_max3_f32 v48, |v78|, |v79|, v48                          // 000000020E94: D1D30330 04C29F4E
	s_nop 2                                                    // 000000020E9C: BF800002
	v_rcp_f32_e32 v48, v48                                     // 000000020EA0: 7E604530
	s_nop 1                                                    // 000000020EA4: BF800001
	v_mul_f32_e32 v48, 0x42fe0000, v48                         // 000000020EA8: 0A6060FF 42FE0000
	v_mul_f32_e32 v128, v48, v240                              // 000000020EB0: 0B01E130
	v_mul_f32_e32 v129, v48, v241                              // 000000020EB4: 0B03E330
	v_mul_f32_e32 v130, v48, v242                              // 000000020EB8: 0B05E530
	v_mul_f32_e32 v131, v48, v243                              // 000000020EBC: 0B07E730
	v_mul_f32_e32 v132, v48, v244                              // 000000020EC0: 0B09E930
	v_mul_f32_e32 v133, v48, v245                              // 000000020EC4: 0B0BEB30
	v_mul_f32_e32 v134, v48, v246                              // 000000020EC8: 0B0DED30
	v_mul_f32_e32 v135, v48, v247                              // 000000020ECC: 0B0FEF30
	v_mul_f32_e32 v136, v48, v248                              // 000000020ED0: 0B11F130
	v_mul_f32_e32 v137, v48, v249                              // 000000020ED4: 0B13F330
	v_mul_f32_e32 v138, v48, v250                              // 000000020ED8: 0B15F530
	v_mul_f32_e32 v139, v48, v251                              // 000000020EDC: 0B17F730
	v_mul_f32_e32 v140, v48, v252                              // 000000020EE0: 0B19F930
	v_mul_f32_e32 v141, v48, v253                              // 000000020EE4: 0B1BFB30
	v_mul_f32_e32 v142, v48, v254                              // 000000020EE8: 0B1DFD30
	v_mul_f32_e32 v143, v48, v255                              // 000000020EEC: 0B1FFF30
	v_cvt_i32_f32_e32 v128, v128                               // 000000020EF0: 7F001180
	v_cvt_i32_f32_e32 v129, v129                               // 000000020EF4: 7F021181
	v_cvt_i32_f32_e32 v130, v130                               // 000000020EF8: 7F041182
	v_cvt_i32_f32_e32 v131, v131                               // 000000020EFC: 7F061183
	v_cvt_i32_f32_e32 v132, v132                               // 000000020F00: 7F081184
	v_cvt_i32_f32_e32 v133, v133                               // 000000020F04: 7F0A1185
	v_cvt_i32_f32_e32 v134, v134                               // 000000020F08: 7F0C1186
	v_cvt_i32_f32_e32 v135, v135                               // 000000020F0C: 7F0E1187
	v_cvt_i32_f32_e32 v136, v136                               // 000000020F10: 7F101188
	v_cvt_i32_f32_e32 v137, v137                               // 000000020F14: 7F121189
	v_cvt_i32_f32_e32 v138, v138                               // 000000020F18: 7F14118A
	v_cvt_i32_f32_e32 v139, v139                               // 000000020F1C: 7F16118B
	v_cvt_i32_f32_e32 v140, v140                               // 000000020F20: 7F18118C
	v_cvt_i32_f32_e32 v141, v141                               // 000000020F24: 7F1A118D
	v_cvt_i32_f32_e32 v142, v142                               // 000000020F28: 7F1C118E
	v_cvt_i32_f32_e32 v143, v143                               // 000000020F2C: 7F1E118F
	v_perm_b32 v128, v129, v128, s53                           // 000000020F30: D1ED0080 00D70181
	v_perm_b32 v128, v130, v128, s54                           // 000000020F38: D1ED0080 00DB0182
	v_perm_b32 v128, v131, v128, s55                           // 000000020F40: D1ED0080 00DF0183
	v_perm_b32 v129, v133, v132, s53                           // 000000020F48: D1ED0081 00D70985
	v_perm_b32 v129, v134, v129, s54                           // 000000020F50: D1ED0081 00DB0386
	v_perm_b32 v129, v135, v129, s55                           // 000000020F58: D1ED0081 00DF0387
	v_perm_b32 v130, v137, v136, s53                           // 000000020F60: D1ED0082 00D71189
	v_perm_b32 v130, v138, v130, s54                           // 000000020F68: D1ED0082 00DB058A
	v_perm_b32 v130, v139, v130, s55                           // 000000020F70: D1ED0082 00DF058B
	v_perm_b32 v131, v141, v140, s53                           // 000000020F78: D1ED0083 00D7198D
	v_perm_b32 v131, v142, v131, s54                           // 000000020F80: D1ED0083 00DB078E
	v_perm_b32 v131, v143, v131, s55                           // 000000020F88: D1ED0083 00DF078F
	ds_write_b32 v10, v128 offset:29184                        // 000000020F90: D81A7200 0000800A
	ds_write_b32 v10, v129 offset:30208                        // 000000020F98: D81A7600 0000810A
	ds_write_b32 v10, v130 offset:31232                        // 000000020FA0: D81A7A00 0000820A
	ds_write_b32 v10, v131 offset:32256                        // 000000020FA8: D81A7E00 0000830A
	v_add_f32_e32 v216, v216, v184                             // 000000020FB0: 03B171D8
	v_add_f32_e32 v217, v217, v185                             // 000000020FB4: 03B373D9
	v_add_f32_e32 v218, v218, v186                             // 000000020FB8: 03B575DA
	v_add_f32_e32 v219, v219, v187                             // 000000020FBC: 03B777DB
	v_add_f32_e32 v220, v220, v188                             // 000000020FC0: 03B979DC
	v_add_f32_e32 v221, v221, v189                             // 000000020FC4: 03BB7BDD
	v_add_f32_e32 v222, v222, v190                             // 000000020FC8: 03BD7DDE
	v_add_f32_e32 v223, v223, v191                             // 000000020FCC: 03BF7FDF
	v_rcp_f32_e32 v45, v48                                     // 000000020FD0: 7E5A4530
	s_waitcnt lgkmcnt(0)                                       // 000000020FD4: BF8CC07F
	s_barrier                                                  // 000000020FD8: BF8A0000
	ds_read_b64 v[128:129], v9 offset:29184                    // 000000020FDC: D8EC7200 80000009
	ds_read_b64 v[130:131], v9 offset:29312                    // 000000020FE4: D8EC7280 82000009
	ds_read_b64 v[132:133], v9 offset:30208                    // 000000020FEC: D8EC7600 84000009
	ds_read_b64 v[134:135], v9 offset:30336                    // 000000020FF4: D8EC7680 86000009
	ds_read_b64 v[136:137], v9 offset:31232                    // 000000020FFC: D8EC7A00 88000009
	ds_read_b64 v[138:139], v9 offset:31360                    // 000000021004: D8EC7A80 8A000009
	ds_read_b64 v[140:141], v9 offset:32256                    // 00000002100C: D8EC7E00 8C000009
	ds_read_b64 v[142:143], v9 offset:32384                    // 000000021014: D8EC7E80 8E000009
	v_mov_b32_dpp v64, v42 row_shr:4 row_mask:0xf bank_mask:0xf// 00000002101C: 7E8002FA FF01142A
	v_mov_b32_dpp v65, v42 row_shl:4 row_mask:0xf bank_mask:0xf// 000000021024: 7E8202FA FF01042A
	v_cndmask_b32_e64 v248, v42, v64, s[44:45]                 // 00000002102C: D10000F8 00B2812A
	v_cndmask_b32_e64 v249, v65, v42, s[44:45]                 // 000000021034: D10000F9 00B25541
	v_mov_b32_dpp v64, v248 row_shr:8 row_mask:0xf bank_mask:0xf// 00000002103C: 7E8002FA FF0118F8
	v_mov_b32_dpp v65, v248 row_shl:8 row_mask:0xf bank_mask:0xf// 000000021044: 7E8202FA FF0108F8
	v_mov_b32_dpp v66, v249 row_shr:8 row_mask:0xf bank_mask:0xf// 00000002104C: 7E8402FA FF0118F9
	v_mov_b32_dpp v67, v249 row_shl:8 row_mask:0xf bank_mask:0xf// 000000021054: 7E8602FA FF0108F9
	v_mov_b32_e32 v68, v248                                    // 00000002105C: 7E8803F8
	v_mov_b32_e32 v69, v249                                    // 000000021060: 7E8A03F9
	v_cndmask_b32_e64 v248, v68, v64, s[42:43]                 // 000000021064: D10000F8 00AA8144
	v_cndmask_b32_e64 v250, v68, v65, s[78:79]                 // 00000002106C: D10000FA 013A8344
	v_cndmask_b32_e64 v249, v69, v66, s[42:43]                 // 000000021074: D10000F9 00AA8545
	v_cndmask_b32_e64 v251, v69, v67, s[78:79]                 // 00000002107C: D10000FB 013A8745
	v_mov_b32_dpp v64, v57 row_shr:4 row_mask:0xf bank_mask:0xf// 000000021084: 7E8002FA FF011439
	v_mov_b32_dpp v65, v57 row_shl:4 row_mask:0xf bank_mask:0xf// 00000002108C: 7E8202FA FF010439
	v_cndmask_b32_e64 v252, v57, v64, s[44:45]                 // 000000021094: D10000FC 00B28139
	v_cndmask_b32_e64 v253, v65, v57, s[44:45]                 // 00000002109C: D10000FD 00B27341
	v_mov_b32_dpp v64, v252 row_shr:8 row_mask:0xf bank_mask:0xf// 0000000210A4: 7E8002FA FF0118FC
	v_mov_b32_dpp v65, v252 row_shl:8 row_mask:0xf bank_mask:0xf// 0000000210AC: 7E8202FA FF0108FC
	v_mov_b32_dpp v66, v253 row_shr:8 row_mask:0xf bank_mask:0xf// 0000000210B4: 7E8402FA FF0118FD
	v_mov_b32_dpp v67, v253 row_shl:8 row_mask:0xf bank_mask:0xf// 0000000210BC: 7E8602FA FF0108FD
	v_mov_b32_e32 v68, v252                                    // 0000000210C4: 7E8803FC
	v_mov_b32_e32 v69, v253                                    // 0000000210C8: 7E8A03FD
	v_cndmask_b32_e64 v252, v68, v64, s[42:43]                 // 0000000210CC: D10000FC 00AA8144
	v_cndmask_b32_e64 v254, v68, v65, s[78:79]                 // 0000000210D4: D10000FE 013A8344
	v_cndmask_b32_e64 v253, v69, v66, s[42:43]                 // 0000000210DC: D10000FD 00AA8545
	v_cndmask_b32_e64 v255, v69, v67, s[78:79]                 // 0000000210E4: D10000FF 013A8745
	v_cvt_f32_i32_e32 v144, v144                               // 0000000210EC: 7F200B90
	v_cvt_f32_i32_e32 v145, v145                               // 0000000210F0: 7F220B91
	v_cvt_f32_i32_e32 v146, v146                               // 0000000210F4: 7F240B92
	v_cvt_f32_i32_e32 v147, v147                               // 0000000210F8: 7F260B93
	v_cvt_f32_i32_e32 v148, v148                               // 0000000210FC: 7F280B94
	v_cvt_f32_i32_e32 v149, v149                               // 000000021100: 7F2A0B95
	v_cvt_f32_i32_e32 v150, v150                               // 000000021104: 7F2C0B96
	v_cvt_f32_i32_e32 v151, v151                               // 000000021108: 7F2E0B97
	v_cvt_f32_i32_e32 v152, v152                               // 00000002110C: 7F300B98
	v_cvt_f32_i32_e32 v153, v153                               // 000000021110: 7F320B99
	v_cvt_f32_i32_e32 v154, v154                               // 000000021114: 7F340B9A
	v_cvt_f32_i32_e32 v155, v155                               // 000000021118: 7F360B9B
	v_cvt_f32_i32_e32 v156, v156                               // 00000002111C: 7F380B9C
	v_cvt_f32_i32_e32 v157, v157                               // 000000021120: 7F3A0B9D
	v_cvt_f32_i32_e32 v158, v158                               // 000000021124: 7F3C0B9E
	v_cvt_f32_i32_e32 v159, v159                               // 000000021128: 7F3E0B9F
	v_mul_f32_e32 v144, v20, v144                              // 00000002112C: 0B212114
	v_mul_f32_e32 v145, v20, v145                              // 000000021130: 0B232314
	v_mul_f32_e32 v146, v20, v146                              // 000000021134: 0B252514
	v_mul_f32_e32 v147, v20, v147                              // 000000021138: 0B272714
	v_mul_f32_e32 v148, v20, v148                              // 00000002113C: 0B292914
	v_mul_f32_e32 v149, v20, v149                              // 000000021140: 0B2B2B14
	v_mul_f32_e32 v150, v20, v150                              // 000000021144: 0B2D2D14
	v_mul_f32_e32 v151, v20, v151                              // 000000021148: 0B2F2F14
	v_mul_f32_e32 v152, v20, v152                              // 00000002114C: 0B313114
	v_mul_f32_e32 v153, v20, v153                              // 000000021150: 0B333314
	v_mul_f32_e32 v154, v20, v154                              // 000000021154: 0B353514
	v_mul_f32_e32 v155, v20, v155                              // 000000021158: 0B373714
	v_mul_f32_e32 v156, v20, v156                              // 00000002115C: 0B393914
	v_mul_f32_e32 v157, v20, v157                              // 000000021160: 0B3B3B14
	v_mul_f32_e32 v158, v20, v158                              // 000000021164: 0B3D3D14
	v_mul_f32_e32 v159, v20, v159                              // 000000021168: 0B3F3F14
	v_mul_f32_dpp v144, v248, v144 quad_perm:[0,0,0,0] row_mask:0xf bank_mask:0xf// 00000002116C: 0B2120FA FF0000F8
	v_mul_f32_dpp v145, v248, v145 quad_perm:[1,1,1,1] row_mask:0xf bank_mask:0xf// 000000021174: 0B2322FA FF0055F8
	v_mul_f32_dpp v146, v248, v146 quad_perm:[2,2,2,2] row_mask:0xf bank_mask:0xf// 00000002117C: 0B2524FA FF00AAF8
	v_mul_f32_dpp v147, v248, v147 quad_perm:[3,3,3,3] row_mask:0xf bank_mask:0xf// 000000021184: 0B2726FA FF00FFF8
	v_mul_f32_dpp v148, v249, v148 quad_perm:[0,0,0,0] row_mask:0xf bank_mask:0xf// 00000002118C: 0B2928FA FF0000F9
	v_mul_f32_dpp v149, v249, v149 quad_perm:[1,1,1,1] row_mask:0xf bank_mask:0xf// 000000021194: 0B2B2AFA FF0055F9
	v_mul_f32_dpp v150, v249, v150 quad_perm:[2,2,2,2] row_mask:0xf bank_mask:0xf// 00000002119C: 0B2D2CFA FF00AAF9
	v_mul_f32_dpp v151, v249, v151 quad_perm:[3,3,3,3] row_mask:0xf bank_mask:0xf// 0000000211A4: 0B2F2EFA FF00FFF9
	v_mul_f32_dpp v152, v250, v152 quad_perm:[0,0,0,0] row_mask:0xf bank_mask:0xf// 0000000211AC: 0B3130FA FF0000FA
	v_mul_f32_dpp v153, v250, v153 quad_perm:[1,1,1,1] row_mask:0xf bank_mask:0xf// 0000000211B4: 0B3332FA FF0055FA
	v_mul_f32_dpp v154, v250, v154 quad_perm:[2,2,2,2] row_mask:0xf bank_mask:0xf// 0000000211BC: 0B3534FA FF00AAFA
	v_mul_f32_dpp v155, v250, v155 quad_perm:[3,3,3,3] row_mask:0xf bank_mask:0xf// 0000000211C4: 0B3736FA FF00FFFA
	v_mul_f32_dpp v156, v251, v156 quad_perm:[0,0,0,0] row_mask:0xf bank_mask:0xf// 0000000211CC: 0B3938FA FF0000FB
	v_mul_f32_dpp v157, v251, v157 quad_perm:[1,1,1,1] row_mask:0xf bank_mask:0xf// 0000000211D4: 0B3B3AFA FF0055FB
	v_mul_f32_dpp v158, v251, v158 quad_perm:[2,2,2,2] row_mask:0xf bank_mask:0xf// 0000000211DC: 0B3D3CFA FF00AAFB
	v_mul_f32_dpp v159, v251, v159 quad_perm:[3,3,3,3] row_mask:0xf bank_mask:0xf// 0000000211E4: 0B3F3EFA FF00FFFB
	s_cmp_le_i32 s90, s89                                      // 0000000211EC: BF05595A
	s_cbranch_scc1 label_7C6E                                  // 0000000211F0: BF850071
	v_mov_b32_e32 v66, 0xff800000                              // 0000000211F4: 7E8402FF FF800000
	s_mov_b32 s60, s90                                         // 0000000211FC: BEBC005A
	s_add_u32 s61, s89, 0xff                                   // 000000021200: 803DFF59 000000FF
	v_mov_b32_e32 v64, s61                                     // 000000021208: 7E80023D
	v_lshrrev_b32_e32 v240, 4, v0                              // 00000002120C: 21E00084
	v_mul_i32_i24_e32 v240, 4, v240                            // 000000021210: 0DE1E084
	v_add_u32_e32 v240, s60, v240                              // 000000021214: 69E1E03C
	s_mov_b32 s61, 2                                           // 000000021218: BEBD0082
	s_mul_i32 s60, 16, s7                                      // 00000002121C: 923C0790
	v_sub_u32_e64 v240, v240, s61                              // 000000021220: D13500F0 00007BF0
	v_add_u32_e32 v240, s60, v240                              // 000000021228: 69E1E03C
	v_add_u32_e32 v241, 1, v240                                // 00000002122C: 69E3E081
	v_add_u32_e32 v242, 2, v240                                // 000000021230: 69E5E082
	v_add_u32_e32 v243, 3, v240                                // 000000021234: 69E7E083
	v_cmp_le_u32_e64 s[40:41], v240, v64                       // 000000021238: D0CB0028 000281F0
	v_add_u32_e32 v240, 64, v240                               // 000000021240: 69E1E0C0
	s_nop 0                                                    // 000000021244: BF800000
	v_cndmask_b32_e64 v144, v66, v144, s[40:41]                // 000000021248: D1000090 00A32142
	v_cmp_le_u32_e64 s[40:41], v241, v64                       // 000000021250: D0CB0028 000281F1
	v_add_u32_e32 v241, 64, v241                               // 000000021258: 69E3E2C0
	s_nop 0                                                    // 00000002125C: BF800000
	v_cndmask_b32_e64 v145, v66, v145, s[40:41]                // 000000021260: D1000091 00A32342
	v_cmp_le_u32_e64 s[40:41], v242, v64                       // 000000021268: D0CB0028 000281F2
	v_add_u32_e32 v242, 64, v242                               // 000000021270: 69E5E4C0
	s_nop 0                                                    // 000000021274: BF800000
	v_cndmask_b32_e64 v146, v66, v146, s[40:41]                // 000000021278: D1000092 00A32542
	v_cmp_le_u32_e64 s[40:41], v243, v64                       // 000000021280: D0CB0028 000281F3
	v_add_u32_e32 v243, 64, v243                               // 000000021288: 69E7E6C0
	s_nop 0                                                    // 00000002128C: BF800000
	v_cndmask_b32_e64 v147, v66, v147, s[40:41]                // 000000021290: D1000093 00A32742
	v_cmp_le_u32_e64 s[40:41], v240, v64                       // 000000021298: D0CB0028 000281F0
	v_add_u32_e32 v240, 64, v240                               // 0000000212A0: 69E1E0C0
	s_nop 0                                                    // 0000000212A4: BF800000
	v_cndmask_b32_e64 v148, v66, v148, s[40:41]                // 0000000212A8: D1000094 00A32942
	v_cmp_le_u32_e64 s[40:41], v241, v64                       // 0000000212B0: D0CB0028 000281F1
	v_add_u32_e32 v241, 64, v241                               // 0000000212B8: 69E3E2C0
	s_nop 0                                                    // 0000000212BC: BF800000
	v_cndmask_b32_e64 v149, v66, v149, s[40:41]                // 0000000212C0: D1000095 00A32B42
	v_cmp_le_u32_e64 s[40:41], v242, v64                       // 0000000212C8: D0CB0028 000281F2
	v_add_u32_e32 v242, 64, v242                               // 0000000212D0: 69E5E4C0
	s_nop 0                                                    // 0000000212D4: BF800000
	v_cndmask_b32_e64 v150, v66, v150, s[40:41]                // 0000000212D8: D1000096 00A32D42
	v_cmp_le_u32_e64 s[40:41], v243, v64                       // 0000000212E0: D0CB0028 000281F3
	v_add_u32_e32 v243, 64, v243                               // 0000000212E8: 69E7E6C0
	s_nop 0                                                    // 0000000212EC: BF800000
	v_cndmask_b32_e64 v151, v66, v151, s[40:41]                // 0000000212F0: D1000097 00A32F42
	v_cmp_le_u32_e64 s[40:41], v240, v64                       // 0000000212F8: D0CB0028 000281F0
	v_add_u32_e32 v240, 64, v240                               // 000000021300: 69E1E0C0
	s_nop 0                                                    // 000000021304: BF800000
	v_cndmask_b32_e64 v152, v66, v152, s[40:41]                // 000000021308: D1000098 00A33142
	v_cmp_le_u32_e64 s[40:41], v241, v64                       // 000000021310: D0CB0028 000281F1
	v_add_u32_e32 v241, 64, v241                               // 000000021318: 69E3E2C0
	s_nop 0                                                    // 00000002131C: BF800000
	v_cndmask_b32_e64 v153, v66, v153, s[40:41]                // 000000021320: D1000099 00A33342
	v_cmp_le_u32_e64 s[40:41], v242, v64                       // 000000021328: D0CB0028 000281F2
	v_add_u32_e32 v242, 64, v242                               // 000000021330: 69E5E4C0
	s_nop 0                                                    // 000000021334: BF800000
	v_cndmask_b32_e64 v154, v66, v154, s[40:41]                // 000000021338: D100009A 00A33542
	v_cmp_le_u32_e64 s[40:41], v243, v64                       // 000000021340: D0CB0028 000281F3
	v_add_u32_e32 v243, 64, v243                               // 000000021348: 69E7E6C0
	s_nop 0                                                    // 00000002134C: BF800000
	v_cndmask_b32_e64 v155, v66, v155, s[40:41]                // 000000021350: D100009B 00A33742
	v_cmp_le_u32_e64 s[40:41], v240, v64                       // 000000021358: D0CB0028 000281F0
	v_add_u32_e32 v240, 64, v240                               // 000000021360: 69E1E0C0
	s_nop 0                                                    // 000000021364: BF800000
	v_cndmask_b32_e64 v156, v66, v156, s[40:41]                // 000000021368: D100009C 00A33942
	v_cmp_le_u32_e64 s[40:41], v241, v64                       // 000000021370: D0CB0028 000281F1
	v_add_u32_e32 v241, 64, v241                               // 000000021378: 69E3E2C0
	s_nop 0                                                    // 00000002137C: BF800000
	v_cndmask_b32_e64 v157, v66, v157, s[40:41]                // 000000021380: D100009D 00A33B42
	v_cmp_le_u32_e64 s[40:41], v242, v64                       // 000000021388: D0CB0028 000281F2
	v_add_u32_e32 v242, 64, v242                               // 000000021390: 69E5E4C0
	s_nop 0                                                    // 000000021394: BF800000
	v_cndmask_b32_e64 v158, v66, v158, s[40:41]                // 000000021398: D100009E 00A33D42
	v_cmp_le_u32_e64 s[40:41], v243, v64                       // 0000000213A0: D0CB0028 000281F3
	v_add_u32_e32 v243, 64, v243                               // 0000000213A8: 69E7E6C0
	s_nop 0                                                    // 0000000213AC: BF800000
	v_cndmask_b32_e64 v159, v66, v159, s[40:41]                // 0000000213B0: D100009F 00A33F42

00000000000213b8 <label_7C6E>:
	v_mov_b32_e32 v48, v144                                    // 0000000213B8: 7E600390
	v_max3_f32 v48, v144, v145, v48                            // 0000000213BC: D1D30030 04C32390
	v_max3_f32 v48, v146, v147, v48                            // 0000000213C4: D1D30030 04C32792
	v_max3_f32 v48, v148, v149, v48                            // 0000000213CC: D1D30030 04C32B94
	v_max3_f32 v48, v150, v151, v48                            // 0000000213D4: D1D30030 04C32F96
	v_max3_f32 v48, v152, v153, v48                            // 0000000213DC: D1D30030 04C33398
	v_max3_f32 v48, v154, v155, v48                            // 0000000213E4: D1D30030 04C3379A
	v_max3_f32 v48, v156, v157, v48                            // 0000000213EC: D1D30030 04C33B9C
	v_max3_f32 v48, v158, v159, v48                            // 0000000213F4: D1D30030 04C33F9E
	ds_write_b32 v8, v48 offset:16896                          // 0000000213FC: D81A4200 00003008
	v_mul_f32_e32 v224, v51, v224                              // 000000021404: 0BC1C133
	v_mul_f32_e32 v225, v51, v225                              // 000000021408: 0BC3C333
	v_mul_f32_e32 v226, v51, v226                              // 00000002140C: 0BC5C533
	v_mul_f32_e32 v227, v51, v227                              // 000000021410: 0BC7C733
	v_mul_f32_e32 v228, v51, v228                              // 000000021414: 0BC9C933
	v_mul_f32_e32 v229, v51, v229                              // 000000021418: 0BCBCB33
	v_mul_f32_e32 v230, v51, v230                              // 00000002141C: 0BCDCD33
	v_mul_f32_e32 v231, v51, v231                              // 000000021420: 0BCFCF33
	s_waitcnt lgkmcnt(0)                                       // 000000021424: BF8CC07F
	s_barrier                                                  // 000000021428: BF8A0000
	ds_read_b32 v64, v7 offset:16896                           // 00000002142C: D86C4200 40000007
	ds_read_b32 v65, v7 offset:16960                           // 000000021434: D86C4240 41000007
	ds_read_b32 v66, v7 offset:17024                           // 00000002143C: D86C4280 42000007
	ds_read_b32 v67, v7 offset:17088                           // 000000021444: D86C42C0 43000007
	ds_read_b32 v68, v7 offset:17152                           // 00000002144C: D86C4300 44000007
	ds_read_b32 v69, v7 offset:17216                           // 000000021454: D86C4340 45000007
	ds_read_b32 v70, v7 offset:17280                           // 00000002145C: D86C4380 46000007
	ds_read_b32 v71, v7 offset:17344                           // 000000021464: D86C43C0 47000007
	ds_read_b32 v72, v7 offset:17408                           // 00000002146C: D86C4400 48000007
	ds_read_b32 v73, v7 offset:17472                           // 000000021474: D86C4440 49000007
	ds_read_b32 v74, v7 offset:17536                           // 00000002147C: D86C4480 4A000007
	ds_read_b32 v75, v7 offset:17600                           // 000000021484: D86C44C0 4B000007
	ds_read_b32 v76, v7 offset:17664                           // 00000002148C: D86C4500 4C000007
	ds_read_b32 v77, v7 offset:17728                           // 000000021494: D86C4540 4D000007
	ds_read_b32 v78, v7 offset:17792                           // 00000002149C: D86C4580 4E000007
	ds_read_b32 v79, v7 offset:17856                           // 0000000214A4: D86C45C0 4F000007
	v_cvt_f32_i32_e32 v192, v192                               // 0000000214AC: 7F800BC0
	v_cvt_f32_i32_e32 v193, v193                               // 0000000214B0: 7F820BC1
	v_cvt_f32_i32_e32 v194, v194                               // 0000000214B4: 7F840BC2
	v_cvt_f32_i32_e32 v195, v195                               // 0000000214B8: 7F860BC3
	v_cvt_f32_i32_e32 v196, v196                               // 0000000214BC: 7F880BC4
	v_cvt_f32_i32_e32 v197, v197                               // 0000000214C0: 7F8A0BC5
	v_cvt_f32_i32_e32 v198, v198                               // 0000000214C4: 7F8C0BC6
	v_cvt_f32_i32_e32 v199, v199                               // 0000000214C8: 7F8E0BC7
	v_mul_f32_e32 v192, v46, v192                              // 0000000214CC: 0B81812E
	v_mul_f32_e32 v193, v46, v193                              // 0000000214D0: 0B83832E
	v_mul_f32_e32 v194, v46, v194                              // 0000000214D4: 0B85852E
	v_mul_f32_e32 v195, v46, v195                              // 0000000214D8: 0B87872E
	v_mul_f32_e32 v196, v46, v196                              // 0000000214DC: 0B89892E
	v_mul_f32_e32 v197, v46, v197                              // 0000000214E0: 0B8B8B2E
	v_mul_f32_e32 v198, v46, v198                              // 0000000214E4: 0B8D8D2E
	v_mul_f32_e32 v199, v46, v199                              // 0000000214E8: 0B8F8F2E
	s_waitcnt lgkmcnt(0)                                       // 0000000214EC: BF8CC07F
	v_max3_f32 v48, v64, v65, v48                              // 0000000214F0: D1D30030 04C28340
	v_max3_f32 v48, v66, v67, v48                              // 0000000214F8: D1D30030 04C28742
	v_max3_f32 v48, v68, v69, v48                              // 000000021500: D1D30030 04C28B44
	v_max3_f32 v48, v70, v71, v48                              // 000000021508: D1D30030 04C28F46
	v_max3_f32 v48, v72, v73, v48                              // 000000021510: D1D30030 04C29348
	v_max3_f32 v48, v74, v75, v48                              // 000000021518: D1D30030 04C2974A
	v_max3_f32 v48, v76, v77, v48                              // 000000021520: D1D30030 04C29B4C
	v_max3_f32 v48, v78, v79, v48                              // 000000021528: D1D30030 04C29F4E
	v_mov_b32_e32 v64, 0xff800000                              // 000000021530: 7E8002FF FF800000
	v_cmp_eq_u32_e64 s[40:41], v64, v13                        // 000000021538: D0CA0028 00021B40
	s_nop 1                                                    // 000000021540: BF800001
	v_max_f32_e32 v15, v48, v13                                // 000000021544: 161E1B30
	v_mul_f32_e32 v53, s64, v15                                // 000000021548: 0A6A1E40
	v_fma_f32 v144, v144, s64, -v53                            // 00000002154C: D1CB0090 84D48190
	v_fma_f32 v145, v145, s64, -v53                            // 000000021554: D1CB0091 84D48191
	v_fma_f32 v146, v146, s64, -v53                            // 00000002155C: D1CB0092 84D48192
	v_fma_f32 v147, v147, s64, -v53                            // 000000021564: D1CB0093 84D48193
	v_fma_f32 v148, v148, s64, -v53                            // 00000002156C: D1CB0094 84D48194
	v_fma_f32 v149, v149, s64, -v53                            // 000000021574: D1CB0095 84D48195
	v_fma_f32 v150, v150, s64, -v53                            // 00000002157C: D1CB0096 84D48196
	v_fma_f32 v151, v151, s64, -v53                            // 000000021584: D1CB0097 84D48197
	v_fma_f32 v152, v152, s64, -v53                            // 00000002158C: D1CB0098 84D48198
	v_fma_f32 v153, v153, s64, -v53                            // 000000021594: D1CB0099 84D48199
	v_fma_f32 v154, v154, s64, -v53                            // 00000002159C: D1CB009A 84D4819A
	v_fma_f32 v155, v155, s64, -v53                            // 0000000215A4: D1CB009B 84D4819B
	v_fma_f32 v156, v156, s64, -v53                            // 0000000215AC: D1CB009C 84D4819C
	v_fma_f32 v157, v157, s64, -v53                            // 0000000215B4: D1CB009D 84D4819D
	v_fma_f32 v158, v158, s64, -v53                            // 0000000215BC: D1CB009E 84D4819E
	v_fma_f32 v159, v159, s64, -v53                            // 0000000215C4: D1CB009F 84D4819F
	v_exp_f32_e32 v144, v144                                   // 0000000215CC: 7F204190
	v_exp_f32_e32 v145, v145                                   // 0000000215D0: 7F224191
	v_exp_f32_e32 v146, v146                                   // 0000000215D4: 7F244192
	v_exp_f32_e32 v147, v147                                   // 0000000215D8: 7F264193
	v_exp_f32_e32 v148, v148                                   // 0000000215DC: 7F284194
	v_exp_f32_e32 v149, v149                                   // 0000000215E0: 7F2A4195
	v_exp_f32_e32 v150, v150                                   // 0000000215E4: 7F2C4196
	v_exp_f32_e32 v151, v151                                   // 0000000215E8: 7F2E4197
	v_exp_f32_e32 v152, v152                                   // 0000000215EC: 7F304198
	v_exp_f32_e32 v153, v153                                   // 0000000215F0: 7F324199
	v_exp_f32_e32 v154, v154                                   // 0000000215F4: 7F34419A
	v_exp_f32_e32 v155, v155                                   // 0000000215F8: 7F36419B
	v_exp_f32_e32 v156, v156                                   // 0000000215FC: 7F38419C
	v_exp_f32_e32 v157, v157                                   // 000000021600: 7F3A419D
	v_exp_f32_e32 v158, v158                                   // 000000021604: 7F3C419E
	v_exp_f32_e32 v159, v159                                   // 000000021608: 7F3E419F
	v_mul_f32_dpp v240, v252, v144 quad_perm:[0,0,0,0] row_mask:0xf bank_mask:0xf// 00000002160C: 0BE120FA FF0000FC
	v_mul_f32_dpp v241, v252, v145 quad_perm:[1,1,1,1] row_mask:0xf bank_mask:0xf// 000000021614: 0BE322FA FF0055FC
	v_mul_f32_dpp v242, v252, v146 quad_perm:[2,2,2,2] row_mask:0xf bank_mask:0xf// 00000002161C: 0BE524FA FF00AAFC
	v_mul_f32_dpp v243, v252, v147 quad_perm:[3,3,3,3] row_mask:0xf bank_mask:0xf// 000000021624: 0BE726FA FF00FFFC
	v_mul_f32_dpp v244, v253, v148 quad_perm:[0,0,0,0] row_mask:0xf bank_mask:0xf// 00000002162C: 0BE928FA FF0000FD
	v_mul_f32_dpp v245, v253, v149 quad_perm:[1,1,1,1] row_mask:0xf bank_mask:0xf// 000000021634: 0BEB2AFA FF0055FD
	v_mul_f32_dpp v246, v253, v150 quad_perm:[2,2,2,2] row_mask:0xf bank_mask:0xf// 00000002163C: 0BED2CFA FF00AAFD
	v_mul_f32_dpp v247, v253, v151 quad_perm:[3,3,3,3] row_mask:0xf bank_mask:0xf// 000000021644: 0BEF2EFA FF00FFFD
	v_mul_f32_dpp v248, v254, v152 quad_perm:[0,0,0,0] row_mask:0xf bank_mask:0xf// 00000002164C: 0BF130FA FF0000FE
	v_mul_f32_dpp v249, v254, v153 quad_perm:[1,1,1,1] row_mask:0xf bank_mask:0xf// 000000021654: 0BF332FA FF0055FE
	v_mul_f32_dpp v250, v254, v154 quad_perm:[2,2,2,2] row_mask:0xf bank_mask:0xf// 00000002165C: 0BF534FA FF00AAFE
	v_mul_f32_dpp v251, v254, v155 quad_perm:[3,3,3,3] row_mask:0xf bank_mask:0xf// 000000021664: 0BF736FA FF00FFFE
	v_mul_f32_dpp v252, v255, v156 quad_perm:[0,0,0,0] row_mask:0xf bank_mask:0xf// 00000002166C: 0BF938FA FF0000FF
	v_mul_f32_dpp v253, v255, v157 quad_perm:[1,1,1,1] row_mask:0xf bank_mask:0xf// 000000021674: 0BFB3AFA FF0055FF
	v_mul_f32_dpp v254, v255, v158 quad_perm:[2,2,2,2] row_mask:0xf bank_mask:0xf// 00000002167C: 0BFD3CFA FF00AAFF
	v_mul_f32_dpp v255, v255, v159 quad_perm:[3,3,3,3] row_mask:0xf bank_mask:0xf// 000000021684: 0BFF3EFA FF00FFFF
	v_mov_b32_e32 v48, 0x358637bd                              // 00000002168C: 7E6002FF 358637BD
	v_max3_f32 v48, |v240|, |v241|, v48                        // 000000021694: D1D30330 04C3E3F0
	v_max3_f32 v48, |v242|, |v243|, v48                        // 00000002169C: D1D30330 04C3E7F2
	v_max3_f32 v48, |v244|, |v245|, v48                        // 0000000216A4: D1D30330 04C3EBF4
	v_max3_f32 v48, |v246|, |v247|, v48                        // 0000000216AC: D1D30330 04C3EFF6
	v_max3_f32 v48, |v248|, |v249|, v48                        // 0000000216B4: D1D30330 04C3F3F8
	v_max3_f32 v48, |v250|, |v251|, v48                        // 0000000216BC: D1D30330 04C3F7FA
	v_max3_f32 v48, |v252|, |v253|, v48                        // 0000000216C4: D1D30330 04C3FBFC
	v_max3_f32 v48, |v254|, |v255|, v48                        // 0000000216CC: D1D30330 04C3FFFE
	ds_write_b32 v8, v48 offset:20992                          // 0000000216D4: D81A5200 00003008
	v_sub_f32_e32 v51, v13, v15                                // 0000000216DC: 04661F0D
	v_cndmask_b32_e64 v51, v51, 0, s[40:41]                    // 0000000216E0: D1000033 00A10133
	v_mov_b32_e32 v13, v15                                     // 0000000216E8: 7E1A030F
	v_mul_f32_e32 v51, s64, v51                                // 0000000216EC: 0A666640
	v_exp_f32_e32 v51, v51                                     // 0000000216F0: 7E664133
	s_waitcnt lgkmcnt(0)                                       // 0000000216F4: BF8CC07F
	s_barrier                                                  // 0000000216F8: BF8A0000
	ds_read_b32 v64, v7 offset:20992                           // 0000000216FC: D86C5200 40000007
	ds_read_b32 v65, v7 offset:21056                           // 000000021704: D86C5240 41000007
	ds_read_b32 v66, v7 offset:21120                           // 00000002170C: D86C5280 42000007
	ds_read_b32 v67, v7 offset:21184                           // 000000021714: D86C52C0 43000007
	ds_read_b32 v68, v7 offset:21248                           // 00000002171C: D86C5300 44000007
	ds_read_b32 v69, v7 offset:21312                           // 000000021724: D86C5340 45000007
	ds_read_b32 v70, v7 offset:21376                           // 00000002172C: D86C5380 46000007
	ds_read_b32 v71, v7 offset:21440                           // 000000021734: D86C53C0 47000007
	ds_read_b32 v72, v7 offset:21504                           // 00000002173C: D86C5400 48000007
	ds_read_b32 v73, v7 offset:21568                           // 000000021744: D86C5440 49000007
	ds_read_b32 v74, v7 offset:21632                           // 00000002174C: D86C5480 4A000007
	ds_read_b32 v75, v7 offset:21696                           // 000000021754: D86C54C0 4B000007
	ds_read_b32 v76, v7 offset:21760                           // 00000002175C: D86C5500 4C000007
	ds_read_b32 v77, v7 offset:21824                           // 000000021764: D86C5540 4D000007
	ds_read_b32 v78, v7 offset:21888                           // 00000002176C: D86C5580 4E000007
	ds_read_b32 v79, v7 offset:21952                           // 000000021774: D86C55C0 4F000007
	v_mul_f32_e32 v40, v51, v40                                // 00000002177C: 0A505133
	v_mov_b32_e32 v15, v144                                    // 000000021780: 7E1E0390
	v_add_f32_e32 v15, v145, v15                               // 000000021784: 021E1F91
	v_add_f32_e32 v15, v146, v15                               // 000000021788: 021E1F92
	v_add_f32_e32 v15, v147, v15                               // 00000002178C: 021E1F93
	v_add_f32_e32 v15, v148, v15                               // 000000021790: 021E1F94
	v_add_f32_e32 v15, v149, v15                               // 000000021794: 021E1F95
	v_add_f32_e32 v15, v150, v15                               // 000000021798: 021E1F96
	v_add_f32_e32 v15, v151, v15                               // 00000002179C: 021E1F97
	v_add_f32_e32 v15, v152, v15                               // 0000000217A0: 021E1F98
	v_add_f32_e32 v15, v153, v15                               // 0000000217A4: 021E1F99
	v_add_f32_e32 v15, v154, v15                               // 0000000217A8: 021E1F9A
	v_add_f32_e32 v15, v155, v15                               // 0000000217AC: 021E1F9B
	v_add_f32_e32 v15, v156, v15                               // 0000000217B0: 021E1F9C
	v_add_f32_e32 v15, v157, v15                               // 0000000217B4: 021E1F9D
	v_add_f32_e32 v15, v158, v15                               // 0000000217B8: 021E1F9E
	v_add_f32_e32 v15, v159, v15                               // 0000000217BC: 021E1F9F
	v_add_f32_e32 v40, v15, v40                                // 0000000217C0: 0250510F
	s_waitcnt lgkmcnt(0)                                       // 0000000217C4: BF8CC07F
	v_max3_f32 v48, |v64|, |v65|, v48                          // 0000000217C8: D1D30330 04C28340
	v_max3_f32 v48, |v66|, |v67|, v48                          // 0000000217D0: D1D30330 04C28742
	v_max3_f32 v48, |v68|, |v69|, v48                          // 0000000217D8: D1D30330 04C28B44
	v_max3_f32 v48, |v70|, |v71|, v48                          // 0000000217E0: D1D30330 04C28F46
	v_max3_f32 v48, |v72|, |v73|, v48                          // 0000000217E8: D1D30330 04C29348
	v_max3_f32 v48, |v74|, |v75|, v48                          // 0000000217F0: D1D30330 04C2974A
	v_max3_f32 v48, |v76|, |v77|, v48                          // 0000000217F8: D1D30330 04C29B4C
	v_max3_f32 v48, |v78|, |v79|, v48                          // 000000021800: D1D30330 04C29F4E
	s_nop 2                                                    // 000000021808: BF800002
	v_rcp_f32_e32 v48, v48                                     // 00000002180C: 7E604530
	s_nop 1                                                    // 000000021810: BF800001
	v_mul_f32_e32 v48, 0x42fe0000, v48                         // 000000021814: 0A6060FF 42FE0000
	v_mul_f32_e32 v144, v48, v240                              // 00000002181C: 0B21E130
	v_mul_f32_e32 v145, v48, v241                              // 000000021820: 0B23E330
	v_mul_f32_e32 v146, v48, v242                              // 000000021824: 0B25E530
	v_mul_f32_e32 v147, v48, v243                              // 000000021828: 0B27E730
	v_mul_f32_e32 v148, v48, v244                              // 00000002182C: 0B29E930
	v_mul_f32_e32 v149, v48, v245                              // 000000021830: 0B2BEB30
	v_mul_f32_e32 v150, v48, v246                              // 000000021834: 0B2DED30
	v_mul_f32_e32 v151, v48, v247                              // 000000021838: 0B2FEF30
	v_mul_f32_e32 v152, v48, v248                              // 00000002183C: 0B31F130
	v_mul_f32_e32 v153, v48, v249                              // 000000021840: 0B33F330
	v_mul_f32_e32 v154, v48, v250                              // 000000021844: 0B35F530
	v_mul_f32_e32 v155, v48, v251                              // 000000021848: 0B37F730
	v_mul_f32_e32 v156, v48, v252                              // 00000002184C: 0B39F930
	v_mul_f32_e32 v157, v48, v253                              // 000000021850: 0B3BFB30
	v_mul_f32_e32 v158, v48, v254                              // 000000021854: 0B3DFD30
	v_mul_f32_e32 v159, v48, v255                              // 000000021858: 0B3FFF30
	v_cvt_i32_f32_e32 v144, v144                               // 00000002185C: 7F201190
	v_cvt_i32_f32_e32 v145, v145                               // 000000021860: 7F221191
	v_cvt_i32_f32_e32 v146, v146                               // 000000021864: 7F241192
	v_cvt_i32_f32_e32 v147, v147                               // 000000021868: 7F261193
	v_cvt_i32_f32_e32 v148, v148                               // 00000002186C: 7F281194
	v_cvt_i32_f32_e32 v149, v149                               // 000000021870: 7F2A1195
	v_cvt_i32_f32_e32 v150, v150                               // 000000021874: 7F2C1196
	v_cvt_i32_f32_e32 v151, v151                               // 000000021878: 7F2E1197
	v_cvt_i32_f32_e32 v152, v152                               // 00000002187C: 7F301198
	v_cvt_i32_f32_e32 v153, v153                               // 000000021880: 7F321199
	v_cvt_i32_f32_e32 v154, v154                               // 000000021884: 7F34119A
	v_cvt_i32_f32_e32 v155, v155                               // 000000021888: 7F36119B
	v_cvt_i32_f32_e32 v156, v156                               // 00000002188C: 7F38119C
	v_cvt_i32_f32_e32 v157, v157                               // 000000021890: 7F3A119D
	v_cvt_i32_f32_e32 v158, v158                               // 000000021894: 7F3C119E
	v_cvt_i32_f32_e32 v159, v159                               // 000000021898: 7F3E119F
	v_perm_b32 v144, v145, v144, s53                           // 00000002189C: D1ED0090 00D72191
	v_perm_b32 v144, v146, v144, s54                           // 0000000218A4: D1ED0090 00DB2192
	v_perm_b32 v144, v147, v144, s55                           // 0000000218AC: D1ED0090 00DF2193
	v_perm_b32 v145, v149, v148, s53                           // 0000000218B4: D1ED0091 00D72995
	v_perm_b32 v145, v150, v145, s54                           // 0000000218BC: D1ED0091 00DB2396
	v_perm_b32 v145, v151, v145, s55                           // 0000000218C4: D1ED0091 00DF2397
	v_perm_b32 v146, v153, v152, s53                           // 0000000218CC: D1ED0092 00D73199
	v_perm_b32 v146, v154, v146, s54                           // 0000000218D4: D1ED0092 00DB259A
	v_perm_b32 v146, v155, v146, s55                           // 0000000218DC: D1ED0092 00DF259B
	v_perm_b32 v147, v157, v156, s53                           // 0000000218E4: D1ED0093 00D7399D
	v_perm_b32 v147, v158, v147, s54                           // 0000000218EC: D1ED0093 00DB279E
	v_perm_b32 v147, v159, v147, s55                           // 0000000218F4: D1ED0093 00DF279F
	ds_write_b32 v10, v144 offset:33280                        // 0000000218FC: D81A8200 0000900A
	ds_write_b32 v10, v145 offset:34304                        // 000000021904: D81A8600 0000910A
	ds_write_b32 v10, v146 offset:35328                        // 00000002190C: D81A8A00 0000920A
	ds_write_b32 v10, v147 offset:36352                        // 000000021914: D81A8E00 0000930A
	v_add_f32_e32 v224, v224, v192                             // 00000002191C: 03C181E0
	v_add_f32_e32 v225, v225, v193                             // 000000021920: 03C383E1
	v_add_f32_e32 v226, v226, v194                             // 000000021924: 03C585E2
	v_add_f32_e32 v227, v227, v195                             // 000000021928: 03C787E3
	v_add_f32_e32 v228, v228, v196                             // 00000002192C: 03C989E4
	v_add_f32_e32 v229, v229, v197                             // 000000021930: 03CB8BE5
	v_add_f32_e32 v230, v230, v198                             // 000000021934: 03CD8DE6
	v_add_f32_e32 v231, v231, v199                             // 000000021938: 03CF8FE7
	v_rcp_f32_e32 v46, v48                                     // 00000002193C: 7E5C4530
	s_waitcnt lgkmcnt(0)                                       // 000000021940: BF8CC07F
	s_barrier                                                  // 000000021944: BF8A0000
	ds_read_b64 v[144:145], v9 offset:33280                    // 000000021948: D8EC8200 90000009
	ds_read_b64 v[146:147], v9 offset:33408                    // 000000021950: D8EC8280 92000009
	ds_read_b64 v[148:149], v9 offset:34304                    // 000000021958: D8EC8600 94000009
	ds_read_b64 v[150:151], v9 offset:34432                    // 000000021960: D8EC8680 96000009
	ds_read_b64 v[152:153], v9 offset:35328                    // 000000021968: D8EC8A00 98000009
	ds_read_b64 v[154:155], v9 offset:35456                    // 000000021970: D8EC8A80 9A000009
	ds_read_b64 v[156:157], v9 offset:36352                    // 000000021978: D8EC8E00 9C000009
	ds_read_b64 v[158:159], v9 offset:36480                    // 000000021980: D8EC8E80 9E000009
	v_mov_b32_dpp v64, v42 row_shr:4 row_mask:0xf bank_mask:0xf// 000000021988: 7E8002FA FF01142A
	v_mov_b32_dpp v65, v42 row_shl:4 row_mask:0xf bank_mask:0xf// 000000021990: 7E8202FA FF01042A
	v_cndmask_b32_e64 v248, v42, v64, s[44:45]                 // 000000021998: D10000F8 00B2812A
	v_cndmask_b32_e64 v249, v65, v42, s[44:45]                 // 0000000219A0: D10000F9 00B25541
	v_mov_b32_dpp v64, v248 row_shr:8 row_mask:0xf bank_mask:0xf// 0000000219A8: 7E8002FA FF0118F8
	v_mov_b32_dpp v65, v248 row_shl:8 row_mask:0xf bank_mask:0xf// 0000000219B0: 7E8202FA FF0108F8
	v_mov_b32_dpp v66, v249 row_shr:8 row_mask:0xf bank_mask:0xf// 0000000219B8: 7E8402FA FF0118F9
	v_mov_b32_dpp v67, v249 row_shl:8 row_mask:0xf bank_mask:0xf// 0000000219C0: 7E8602FA FF0108F9
	v_mov_b32_e32 v68, v248                                    // 0000000219C8: 7E8803F8
	v_mov_b32_e32 v69, v249                                    // 0000000219CC: 7E8A03F9
	v_cndmask_b32_e64 v248, v68, v64, s[42:43]                 // 0000000219D0: D10000F8 00AA8144
	v_cndmask_b32_e64 v250, v68, v65, s[78:79]                 // 0000000219D8: D10000FA 013A8344
	v_cndmask_b32_e64 v249, v69, v66, s[42:43]                 // 0000000219E0: D10000F9 00AA8545
	v_cndmask_b32_e64 v251, v69, v67, s[78:79]                 // 0000000219E8: D10000FB 013A8745
	v_mov_b32_dpp v64, v57 row_shr:4 row_mask:0xf bank_mask:0xf// 0000000219F0: 7E8002FA FF011439
	v_mov_b32_dpp v65, v57 row_shl:4 row_mask:0xf bank_mask:0xf// 0000000219F8: 7E8202FA FF010439
	v_cndmask_b32_e64 v252, v57, v64, s[44:45]                 // 000000021A00: D10000FC 00B28139
	v_cndmask_b32_e64 v253, v65, v57, s[44:45]                 // 000000021A08: D10000FD 00B27341
	v_mov_b32_dpp v64, v252 row_shr:8 row_mask:0xf bank_mask:0xf// 000000021A10: 7E8002FA FF0118FC
	v_mov_b32_dpp v65, v252 row_shl:8 row_mask:0xf bank_mask:0xf// 000000021A18: 7E8202FA FF0108FC
	v_mov_b32_dpp v66, v253 row_shr:8 row_mask:0xf bank_mask:0xf// 000000021A20: 7E8402FA FF0118FD
	v_mov_b32_dpp v67, v253 row_shl:8 row_mask:0xf bank_mask:0xf// 000000021A28: 7E8602FA FF0108FD
	v_mov_b32_e32 v68, v252                                    // 000000021A30: 7E8803FC
	v_mov_b32_e32 v69, v253                                    // 000000021A34: 7E8A03FD
	v_cndmask_b32_e64 v252, v68, v64, s[42:43]                 // 000000021A38: D10000FC 00AA8144
	v_cndmask_b32_e64 v254, v68, v65, s[78:79]                 // 000000021A40: D10000FE 013A8344
	v_cndmask_b32_e64 v253, v69, v66, s[42:43]                 // 000000021A48: D10000FD 00AA8545
	v_cndmask_b32_e64 v255, v69, v67, s[78:79]                 // 000000021A50: D10000FF 013A8745
	v_cvt_f32_i32_e32 v160, v160                               // 000000021A58: 7F400BA0
	v_cvt_f32_i32_e32 v161, v161                               // 000000021A5C: 7F420BA1
	v_cvt_f32_i32_e32 v162, v162                               // 000000021A60: 7F440BA2
	v_cvt_f32_i32_e32 v163, v163                               // 000000021A64: 7F460BA3
	v_cvt_f32_i32_e32 v164, v164                               // 000000021A68: 7F480BA4
	v_cvt_f32_i32_e32 v165, v165                               // 000000021A6C: 7F4A0BA5
	v_cvt_f32_i32_e32 v166, v166                               // 000000021A70: 7F4C0BA6
	v_cvt_f32_i32_e32 v167, v167                               // 000000021A74: 7F4E0BA7
	v_cvt_f32_i32_e32 v168, v168                               // 000000021A78: 7F500BA8
	v_cvt_f32_i32_e32 v169, v169                               // 000000021A7C: 7F520BA9
	v_cvt_f32_i32_e32 v170, v170                               // 000000021A80: 7F540BAA
	v_cvt_f32_i32_e32 v171, v171                               // 000000021A84: 7F560BAB
	v_cvt_f32_i32_e32 v172, v172                               // 000000021A88: 7F580BAC
	v_cvt_f32_i32_e32 v173, v173                               // 000000021A8C: 7F5A0BAD
	v_cvt_f32_i32_e32 v174, v174                               // 000000021A90: 7F5C0BAE
	v_cvt_f32_i32_e32 v175, v175                               // 000000021A94: 7F5E0BAF
	v_mul_f32_e32 v160, v21, v160                              // 000000021A98: 0B414115
	v_mul_f32_e32 v161, v21, v161                              // 000000021A9C: 0B434315
	v_mul_f32_e32 v162, v21, v162                              // 000000021AA0: 0B454515
	v_mul_f32_e32 v163, v21, v163                              // 000000021AA4: 0B474715
	v_mul_f32_e32 v164, v21, v164                              // 000000021AA8: 0B494915
	v_mul_f32_e32 v165, v21, v165                              // 000000021AAC: 0B4B4B15
	v_mul_f32_e32 v166, v21, v166                              // 000000021AB0: 0B4D4D15
	v_mul_f32_e32 v167, v21, v167                              // 000000021AB4: 0B4F4F15
	v_mul_f32_e32 v168, v21, v168                              // 000000021AB8: 0B515115
	v_mul_f32_e32 v169, v21, v169                              // 000000021ABC: 0B535315
	v_mul_f32_e32 v170, v21, v170                              // 000000021AC0: 0B555515
	v_mul_f32_e32 v171, v21, v171                              // 000000021AC4: 0B575715
	v_mul_f32_e32 v172, v21, v172                              // 000000021AC8: 0B595915
	v_mul_f32_e32 v173, v21, v173                              // 000000021ACC: 0B5B5B15
	v_mul_f32_e32 v174, v21, v174                              // 000000021AD0: 0B5D5D15
	v_mul_f32_e32 v175, v21, v175                              // 000000021AD4: 0B5F5F15
	v_mul_f32_dpp v160, v248, v160 quad_perm:[0,0,0,0] row_mask:0xf bank_mask:0xf// 000000021AD8: 0B4140FA FF0000F8
	v_mul_f32_dpp v161, v248, v161 quad_perm:[1,1,1,1] row_mask:0xf bank_mask:0xf// 000000021AE0: 0B4342FA FF0055F8
	v_mul_f32_dpp v162, v248, v162 quad_perm:[2,2,2,2] row_mask:0xf bank_mask:0xf// 000000021AE8: 0B4544FA FF00AAF8
	v_mul_f32_dpp v163, v248, v163 quad_perm:[3,3,3,3] row_mask:0xf bank_mask:0xf// 000000021AF0: 0B4746FA FF00FFF8
	v_mul_f32_dpp v164, v249, v164 quad_perm:[0,0,0,0] row_mask:0xf bank_mask:0xf// 000000021AF8: 0B4948FA FF0000F9
	v_mul_f32_dpp v165, v249, v165 quad_perm:[1,1,1,1] row_mask:0xf bank_mask:0xf// 000000021B00: 0B4B4AFA FF0055F9
	v_mul_f32_dpp v166, v249, v166 quad_perm:[2,2,2,2] row_mask:0xf bank_mask:0xf// 000000021B08: 0B4D4CFA FF00AAF9
	v_mul_f32_dpp v167, v249, v167 quad_perm:[3,3,3,3] row_mask:0xf bank_mask:0xf// 000000021B10: 0B4F4EFA FF00FFF9
	v_mul_f32_dpp v168, v250, v168 quad_perm:[0,0,0,0] row_mask:0xf bank_mask:0xf// 000000021B18: 0B5150FA FF0000FA
	v_mul_f32_dpp v169, v250, v169 quad_perm:[1,1,1,1] row_mask:0xf bank_mask:0xf// 000000021B20: 0B5352FA FF0055FA
	v_mul_f32_dpp v170, v250, v170 quad_perm:[2,2,2,2] row_mask:0xf bank_mask:0xf// 000000021B28: 0B5554FA FF00AAFA
	v_mul_f32_dpp v171, v250, v171 quad_perm:[3,3,3,3] row_mask:0xf bank_mask:0xf// 000000021B30: 0B5756FA FF00FFFA
	v_mul_f32_dpp v172, v251, v172 quad_perm:[0,0,0,0] row_mask:0xf bank_mask:0xf// 000000021B38: 0B5958FA FF0000FB
	v_mul_f32_dpp v173, v251, v173 quad_perm:[1,1,1,1] row_mask:0xf bank_mask:0xf// 000000021B40: 0B5B5AFA FF0055FB
	v_mul_f32_dpp v174, v251, v174 quad_perm:[2,2,2,2] row_mask:0xf bank_mask:0xf// 000000021B48: 0B5D5CFA FF00AAFB
	v_mul_f32_dpp v175, v251, v175 quad_perm:[3,3,3,3] row_mask:0xf bank_mask:0xf// 000000021B50: 0B5F5EFA FF00FFFB
	s_cmp_le_i32 s90, s89                                      // 000000021B58: BF05595A
	s_cbranch_scc1 label_7EC9                                  // 000000021B5C: BF850071
	v_mov_b32_e32 v66, 0xff800000                              // 000000021B60: 7E8402FF FF800000
	s_mov_b32 s60, s90                                         // 000000021B68: BEBC005A
	s_add_u32 s61, s89, 0xff                                   // 000000021B6C: 803DFF59 000000FF
	v_mov_b32_e32 v64, s61                                     // 000000021B74: 7E80023D
	v_lshrrev_b32_e32 v240, 4, v0                              // 000000021B78: 21E00084
	v_mul_i32_i24_e32 v240, 4, v240                            // 000000021B7C: 0DE1E084
	v_add_u32_e32 v240, s60, v240                              // 000000021B80: 69E1E03C
	s_mov_b32 s61, 3                                           // 000000021B84: BEBD0083
	s_mul_i32 s60, 16, s7                                      // 000000021B88: 923C0790
	v_sub_u32_e64 v240, v240, s61                              // 000000021B8C: D13500F0 00007BF0
	v_add_u32_e32 v240, s60, v240                              // 000000021B94: 69E1E03C
	v_add_u32_e32 v241, 1, v240                                // 000000021B98: 69E3E081
	v_add_u32_e32 v242, 2, v240                                // 000000021B9C: 69E5E082
	v_add_u32_e32 v243, 3, v240                                // 000000021BA0: 69E7E083
	v_cmp_le_u32_e64 s[40:41], v240, v64                       // 000000021BA4: D0CB0028 000281F0
	v_add_u32_e32 v240, 64, v240                               // 000000021BAC: 69E1E0C0
	s_nop 0                                                    // 000000021BB0: BF800000
	v_cndmask_b32_e64 v160, v66, v160, s[40:41]                // 000000021BB4: D10000A0 00A34142
	v_cmp_le_u32_e64 s[40:41], v241, v64                       // 000000021BBC: D0CB0028 000281F1
	v_add_u32_e32 v241, 64, v241                               // 000000021BC4: 69E3E2C0
	s_nop 0                                                    // 000000021BC8: BF800000
	v_cndmask_b32_e64 v161, v66, v161, s[40:41]                // 000000021BCC: D10000A1 00A34342
	v_cmp_le_u32_e64 s[40:41], v242, v64                       // 000000021BD4: D0CB0028 000281F2
	v_add_u32_e32 v242, 64, v242                               // 000000021BDC: 69E5E4C0
	s_nop 0                                                    // 000000021BE0: BF800000
	v_cndmask_b32_e64 v162, v66, v162, s[40:41]                // 000000021BE4: D10000A2 00A34542
	v_cmp_le_u32_e64 s[40:41], v243, v64                       // 000000021BEC: D0CB0028 000281F3
	v_add_u32_e32 v243, 64, v243                               // 000000021BF4: 69E7E6C0
	s_nop 0                                                    // 000000021BF8: BF800000
	v_cndmask_b32_e64 v163, v66, v163, s[40:41]                // 000000021BFC: D10000A3 00A34742
	v_cmp_le_u32_e64 s[40:41], v240, v64                       // 000000021C04: D0CB0028 000281F0
	v_add_u32_e32 v240, 64, v240                               // 000000021C0C: 69E1E0C0
	s_nop 0                                                    // 000000021C10: BF800000
	v_cndmask_b32_e64 v164, v66, v164, s[40:41]                // 000000021C14: D10000A4 00A34942
	v_cmp_le_u32_e64 s[40:41], v241, v64                       // 000000021C1C: D0CB0028 000281F1
	v_add_u32_e32 v241, 64, v241                               // 000000021C24: 69E3E2C0
	s_nop 0                                                    // 000000021C28: BF800000
	v_cndmask_b32_e64 v165, v66, v165, s[40:41]                // 000000021C2C: D10000A5 00A34B42
	v_cmp_le_u32_e64 s[40:41], v242, v64                       // 000000021C34: D0CB0028 000281F2
	v_add_u32_e32 v242, 64, v242                               // 000000021C3C: 69E5E4C0
	s_nop 0                                                    // 000000021C40: BF800000
	v_cndmask_b32_e64 v166, v66, v166, s[40:41]                // 000000021C44: D10000A6 00A34D42
	v_cmp_le_u32_e64 s[40:41], v243, v64                       // 000000021C4C: D0CB0028 000281F3
	v_add_u32_e32 v243, 64, v243                               // 000000021C54: 69E7E6C0
	s_nop 0                                                    // 000000021C58: BF800000
	v_cndmask_b32_e64 v167, v66, v167, s[40:41]                // 000000021C5C: D10000A7 00A34F42
	v_cmp_le_u32_e64 s[40:41], v240, v64                       // 000000021C64: D0CB0028 000281F0
	v_add_u32_e32 v240, 64, v240                               // 000000021C6C: 69E1E0C0
	s_nop 0                                                    // 000000021C70: BF800000
	v_cndmask_b32_e64 v168, v66, v168, s[40:41]                // 000000021C74: D10000A8 00A35142
	v_cmp_le_u32_e64 s[40:41], v241, v64                       // 000000021C7C: D0CB0028 000281F1
	v_add_u32_e32 v241, 64, v241                               // 000000021C84: 69E3E2C0
	s_nop 0                                                    // 000000021C88: BF800000
	v_cndmask_b32_e64 v169, v66, v169, s[40:41]                // 000000021C8C: D10000A9 00A35342
	v_cmp_le_u32_e64 s[40:41], v242, v64                       // 000000021C94: D0CB0028 000281F2
	v_add_u32_e32 v242, 64, v242                               // 000000021C9C: 69E5E4C0
	s_nop 0                                                    // 000000021CA0: BF800000
	v_cndmask_b32_e64 v170, v66, v170, s[40:41]                // 000000021CA4: D10000AA 00A35542
	v_cmp_le_u32_e64 s[40:41], v243, v64                       // 000000021CAC: D0CB0028 000281F3
	v_add_u32_e32 v243, 64, v243                               // 000000021CB4: 69E7E6C0
	s_nop 0                                                    // 000000021CB8: BF800000
	v_cndmask_b32_e64 v171, v66, v171, s[40:41]                // 000000021CBC: D10000AB 00A35742
	v_cmp_le_u32_e64 s[40:41], v240, v64                       // 000000021CC4: D0CB0028 000281F0
	v_add_u32_e32 v240, 64, v240                               // 000000021CCC: 69E1E0C0
	s_nop 0                                                    // 000000021CD0: BF800000
	v_cndmask_b32_e64 v172, v66, v172, s[40:41]                // 000000021CD4: D10000AC 00A35942
	v_cmp_le_u32_e64 s[40:41], v241, v64                       // 000000021CDC: D0CB0028 000281F1
	v_add_u32_e32 v241, 64, v241                               // 000000021CE4: 69E3E2C0
	s_nop 0                                                    // 000000021CE8: BF800000
	v_cndmask_b32_e64 v173, v66, v173, s[40:41]                // 000000021CEC: D10000AD 00A35B42
	v_cmp_le_u32_e64 s[40:41], v242, v64                       // 000000021CF4: D0CB0028 000281F2
	v_add_u32_e32 v242, 64, v242                               // 000000021CFC: 69E5E4C0
	s_nop 0                                                    // 000000021D00: BF800000
	v_cndmask_b32_e64 v174, v66, v174, s[40:41]                // 000000021D04: D10000AE 00A35D42
	v_cmp_le_u32_e64 s[40:41], v243, v64                       // 000000021D0C: D0CB0028 000281F3
	v_add_u32_e32 v243, 64, v243                               // 000000021D14: 69E7E6C0
	s_nop 0                                                    // 000000021D18: BF800000
	v_cndmask_b32_e64 v175, v66, v175, s[40:41]                // 000000021D1C: D10000AF 00A35F42

0000000000021d24 <label_7EC9>:
	s_add_u32 s90, s91, s90                                    // 000000021D24: 805A5A5B
	v_mov_b32_e32 v48, v160                                    // 000000021D28: 7E6003A0
	v_max3_f32 v48, v160, v161, v48                            // 000000021D2C: D1D30030 04C343A0
	v_max3_f32 v48, v162, v163, v48                            // 000000021D34: D1D30030 04C347A2
	v_max3_f32 v48, v164, v165, v48                            // 000000021D3C: D1D30030 04C34BA4
	v_max3_f32 v48, v166, v167, v48                            // 000000021D44: D1D30030 04C34FA6
	v_max3_f32 v48, v168, v169, v48                            // 000000021D4C: D1D30030 04C353A8
	v_max3_f32 v48, v170, v171, v48                            // 000000021D54: D1D30030 04C357AA
	v_max3_f32 v48, v172, v173, v48                            // 000000021D5C: D1D30030 04C35BAC
	v_max3_f32 v48, v174, v175, v48                            // 000000021D64: D1D30030 04C35FAE
	ds_write_b32 v8, v48 offset:16896                          // 000000021D6C: D81A4200 00003008
	v_mul_f32_e32 v232, v52, v232                              // 000000021D74: 0BD1D134
	v_mul_f32_e32 v233, v52, v233                              // 000000021D78: 0BD3D334
	v_mul_f32_e32 v234, v52, v234                              // 000000021D7C: 0BD5D534
	v_mul_f32_e32 v235, v52, v235                              // 000000021D80: 0BD7D734
	v_mul_f32_e32 v236, v52, v236                              // 000000021D84: 0BD9D934
	v_mul_f32_e32 v237, v52, v237                              // 000000021D88: 0BDBDB34
	v_mul_f32_e32 v238, v52, v238                              // 000000021D8C: 0BDDDD34
	v_mul_f32_e32 v239, v52, v239                              // 000000021D90: 0BDFDF34
	s_waitcnt lgkmcnt(0)                                       // 000000021D94: BF8CC07F
	s_barrier                                                  // 000000021D98: BF8A0000
	ds_read_b32 v64, v7 offset:16896                           // 000000021D9C: D86C4200 40000007
	ds_read_b32 v65, v7 offset:16960                           // 000000021DA4: D86C4240 41000007
	ds_read_b32 v66, v7 offset:17024                           // 000000021DAC: D86C4280 42000007
	ds_read_b32 v67, v7 offset:17088                           // 000000021DB4: D86C42C0 43000007
	ds_read_b32 v68, v7 offset:17152                           // 000000021DBC: D86C4300 44000007
	ds_read_b32 v69, v7 offset:17216                           // 000000021DC4: D86C4340 45000007
	ds_read_b32 v70, v7 offset:17280                           // 000000021DCC: D86C4380 46000007
	ds_read_b32 v71, v7 offset:17344                           // 000000021DD4: D86C43C0 47000007
	ds_read_b32 v72, v7 offset:17408                           // 000000021DDC: D86C4400 48000007
	ds_read_b32 v73, v7 offset:17472                           // 000000021DE4: D86C4440 49000007
	ds_read_b32 v74, v7 offset:17536                           // 000000021DEC: D86C4480 4A000007
	ds_read_b32 v75, v7 offset:17600                           // 000000021DF4: D86C44C0 4B000007
	ds_read_b32 v76, v7 offset:17664                           // 000000021DFC: D86C4500 4C000007
	ds_read_b32 v77, v7 offset:17728                           // 000000021E04: D86C4540 4D000007
	ds_read_b32 v78, v7 offset:17792                           // 000000021E0C: D86C4580 4E000007
	ds_read_b32 v79, v7 offset:17856                           // 000000021E14: D86C45C0 4F000007
	v_cvt_f32_i32_e32 v200, v200                               // 000000021E1C: 7F900BC8
	v_cvt_f32_i32_e32 v201, v201                               // 000000021E20: 7F920BC9
	v_cvt_f32_i32_e32 v202, v202                               // 000000021E24: 7F940BCA
	v_cvt_f32_i32_e32 v203, v203                               // 000000021E28: 7F960BCB
	v_cvt_f32_i32_e32 v204, v204                               // 000000021E2C: 7F980BCC
	v_cvt_f32_i32_e32 v205, v205                               // 000000021E30: 7F9A0BCD
	v_cvt_f32_i32_e32 v206, v206                               // 000000021E34: 7F9C0BCE
	v_cvt_f32_i32_e32 v207, v207                               // 000000021E38: 7F9E0BCF
	v_mul_f32_e32 v200, v47, v200                              // 000000021E3C: 0B91912F
	v_mul_f32_e32 v201, v47, v201                              // 000000021E40: 0B93932F
	v_mul_f32_e32 v202, v47, v202                              // 000000021E44: 0B95952F
	v_mul_f32_e32 v203, v47, v203                              // 000000021E48: 0B97972F
	v_mul_f32_e32 v204, v47, v204                              // 000000021E4C: 0B99992F
	v_mul_f32_e32 v205, v47, v205                              // 000000021E50: 0B9B9B2F
	v_mul_f32_e32 v206, v47, v206                              // 000000021E54: 0B9D9D2F
	v_mul_f32_e32 v207, v47, v207                              // 000000021E58: 0B9F9F2F
	s_waitcnt lgkmcnt(0)                                       // 000000021E5C: BF8CC07F
	v_max3_f32 v48, v64, v65, v48                              // 000000021E60: D1D30030 04C28340
	v_max3_f32 v48, v66, v67, v48                              // 000000021E68: D1D30030 04C28742
	v_max3_f32 v48, v68, v69, v48                              // 000000021E70: D1D30030 04C28B44
	v_max3_f32 v48, v70, v71, v48                              // 000000021E78: D1D30030 04C28F46
	v_max3_f32 v48, v72, v73, v48                              // 000000021E80: D1D30030 04C29348
	v_max3_f32 v48, v74, v75, v48                              // 000000021E88: D1D30030 04C2974A
	v_max3_f32 v48, v76, v77, v48                              // 000000021E90: D1D30030 04C29B4C
	v_max3_f32 v48, v78, v79, v48                              // 000000021E98: D1D30030 04C29F4E
	v_mov_b32_e32 v64, 0xff800000                              // 000000021EA0: 7E8002FF FF800000
	v_cmp_eq_u32_e64 s[40:41], v64, v14                        // 000000021EA8: D0CA0028 00021D40
	s_nop 1                                                    // 000000021EB0: BF800001
	v_max_f32_e32 v15, v48, v14                                // 000000021EB4: 161E1D30
	v_mul_f32_e32 v53, s64, v15                                // 000000021EB8: 0A6A1E40
	v_fma_f32 v160, v160, s64, -v53                            // 000000021EBC: D1CB00A0 84D481A0
	v_fma_f32 v161, v161, s64, -v53                            // 000000021EC4: D1CB00A1 84D481A1
	v_fma_f32 v162, v162, s64, -v53                            // 000000021ECC: D1CB00A2 84D481A2
	v_fma_f32 v163, v163, s64, -v53                            // 000000021ED4: D1CB00A3 84D481A3
	v_fma_f32 v164, v164, s64, -v53                            // 000000021EDC: D1CB00A4 84D481A4
	v_fma_f32 v165, v165, s64, -v53                            // 000000021EE4: D1CB00A5 84D481A5
	v_fma_f32 v166, v166, s64, -v53                            // 000000021EEC: D1CB00A6 84D481A6
	v_fma_f32 v167, v167, s64, -v53                            // 000000021EF4: D1CB00A7 84D481A7
	v_fma_f32 v168, v168, s64, -v53                            // 000000021EFC: D1CB00A8 84D481A8
	v_fma_f32 v169, v169, s64, -v53                            // 000000021F04: D1CB00A9 84D481A9
	v_fma_f32 v170, v170, s64, -v53                            // 000000021F0C: D1CB00AA 84D481AA
	v_fma_f32 v171, v171, s64, -v53                            // 000000021F14: D1CB00AB 84D481AB
	v_fma_f32 v172, v172, s64, -v53                            // 000000021F1C: D1CB00AC 84D481AC
	v_fma_f32 v173, v173, s64, -v53                            // 000000021F24: D1CB00AD 84D481AD
	v_fma_f32 v174, v174, s64, -v53                            // 000000021F2C: D1CB00AE 84D481AE
	v_fma_f32 v175, v175, s64, -v53                            // 000000021F34: D1CB00AF 84D481AF
	v_exp_f32_e32 v160, v160                                   // 000000021F3C: 7F4041A0
	v_exp_f32_e32 v161, v161                                   // 000000021F40: 7F4241A1
	v_exp_f32_e32 v162, v162                                   // 000000021F44: 7F4441A2
	v_exp_f32_e32 v163, v163                                   // 000000021F48: 7F4641A3
	v_exp_f32_e32 v164, v164                                   // 000000021F4C: 7F4841A4
	v_exp_f32_e32 v165, v165                                   // 000000021F50: 7F4A41A5
	v_exp_f32_e32 v166, v166                                   // 000000021F54: 7F4C41A6
	v_exp_f32_e32 v167, v167                                   // 000000021F58: 7F4E41A7
	v_exp_f32_e32 v168, v168                                   // 000000021F5C: 7F5041A8
	v_exp_f32_e32 v169, v169                                   // 000000021F60: 7F5241A9
	v_exp_f32_e32 v170, v170                                   // 000000021F64: 7F5441AA
	v_exp_f32_e32 v171, v171                                   // 000000021F68: 7F5641AB
	v_exp_f32_e32 v172, v172                                   // 000000021F6C: 7F5841AC
	v_exp_f32_e32 v173, v173                                   // 000000021F70: 7F5A41AD
	v_exp_f32_e32 v174, v174                                   // 000000021F74: 7F5C41AE
	v_exp_f32_e32 v175, v175                                   // 000000021F78: 7F5E41AF
	v_mul_f32_dpp v240, v252, v160 quad_perm:[0,0,0,0] row_mask:0xf bank_mask:0xf// 000000021F7C: 0BE140FA FF0000FC
	v_mul_f32_dpp v241, v252, v161 quad_perm:[1,1,1,1] row_mask:0xf bank_mask:0xf// 000000021F84: 0BE342FA FF0055FC
	v_mul_f32_dpp v242, v252, v162 quad_perm:[2,2,2,2] row_mask:0xf bank_mask:0xf// 000000021F8C: 0BE544FA FF00AAFC
	v_mul_f32_dpp v243, v252, v163 quad_perm:[3,3,3,3] row_mask:0xf bank_mask:0xf// 000000021F94: 0BE746FA FF00FFFC
	v_mul_f32_dpp v244, v253, v164 quad_perm:[0,0,0,0] row_mask:0xf bank_mask:0xf// 000000021F9C: 0BE948FA FF0000FD
	v_mul_f32_dpp v245, v253, v165 quad_perm:[1,1,1,1] row_mask:0xf bank_mask:0xf// 000000021FA4: 0BEB4AFA FF0055FD
	v_mul_f32_dpp v246, v253, v166 quad_perm:[2,2,2,2] row_mask:0xf bank_mask:0xf// 000000021FAC: 0BED4CFA FF00AAFD
	v_mul_f32_dpp v247, v253, v167 quad_perm:[3,3,3,3] row_mask:0xf bank_mask:0xf// 000000021FB4: 0BEF4EFA FF00FFFD
	v_mul_f32_dpp v248, v254, v168 quad_perm:[0,0,0,0] row_mask:0xf bank_mask:0xf// 000000021FBC: 0BF150FA FF0000FE
	v_mul_f32_dpp v249, v254, v169 quad_perm:[1,1,1,1] row_mask:0xf bank_mask:0xf// 000000021FC4: 0BF352FA FF0055FE
	v_mul_f32_dpp v250, v254, v170 quad_perm:[2,2,2,2] row_mask:0xf bank_mask:0xf// 000000021FCC: 0BF554FA FF00AAFE
	v_mul_f32_dpp v251, v254, v171 quad_perm:[3,3,3,3] row_mask:0xf bank_mask:0xf// 000000021FD4: 0BF756FA FF00FFFE
	v_mul_f32_dpp v252, v255, v172 quad_perm:[0,0,0,0] row_mask:0xf bank_mask:0xf// 000000021FDC: 0BF958FA FF0000FF
	v_mul_f32_dpp v253, v255, v173 quad_perm:[1,1,1,1] row_mask:0xf bank_mask:0xf// 000000021FE4: 0BFB5AFA FF0055FF
	v_mul_f32_dpp v254, v255, v174 quad_perm:[2,2,2,2] row_mask:0xf bank_mask:0xf// 000000021FEC: 0BFD5CFA FF00AAFF
	v_mul_f32_dpp v255, v255, v175 quad_perm:[3,3,3,3] row_mask:0xf bank_mask:0xf// 000000021FF4: 0BFF5EFA FF00FFFF
	v_mov_b32_e32 v48, 0x358637bd                              // 000000021FFC: 7E6002FF 358637BD
	v_max3_f32 v48, |v240|, |v241|, v48                        // 000000022004: D1D30330 04C3E3F0
	v_max3_f32 v48, |v242|, |v243|, v48                        // 00000002200C: D1D30330 04C3E7F2
	v_max3_f32 v48, |v244|, |v245|, v48                        // 000000022014: D1D30330 04C3EBF4
	v_max3_f32 v48, |v246|, |v247|, v48                        // 00000002201C: D1D30330 04C3EFF6
	v_max3_f32 v48, |v248|, |v249|, v48                        // 000000022024: D1D30330 04C3F3F8
	v_max3_f32 v48, |v250|, |v251|, v48                        // 00000002202C: D1D30330 04C3F7FA
	v_max3_f32 v48, |v252|, |v253|, v48                        // 000000022034: D1D30330 04C3FBFC
	v_max3_f32 v48, |v254|, |v255|, v48                        // 00000002203C: D1D30330 04C3FFFE
	ds_write_b32 v8, v48 offset:20992                          // 000000022044: D81A5200 00003008
	v_sub_f32_e32 v52, v14, v15                                // 00000002204C: 04681F0E
	v_cndmask_b32_e64 v52, v52, 0, s[40:41]                    // 000000022050: D1000034 00A10134
	v_mov_b32_e32 v14, v15                                     // 000000022058: 7E1C030F
	v_mul_f32_e32 v52, s64, v52                                // 00000002205C: 0A686840
	v_exp_f32_e32 v52, v52                                     // 000000022060: 7E684134
	s_waitcnt lgkmcnt(0)                                       // 000000022064: BF8CC07F
	s_barrier                                                  // 000000022068: BF8A0000
	ds_read_b32 v64, v7 offset:20992                           // 00000002206C: D86C5200 40000007
	ds_read_b32 v65, v7 offset:21056                           // 000000022074: D86C5240 41000007
	ds_read_b32 v66, v7 offset:21120                           // 00000002207C: D86C5280 42000007
	ds_read_b32 v67, v7 offset:21184                           // 000000022084: D86C52C0 43000007
	ds_read_b32 v68, v7 offset:21248                           // 00000002208C: D86C5300 44000007
	ds_read_b32 v69, v7 offset:21312                           // 000000022094: D86C5340 45000007
	ds_read_b32 v70, v7 offset:21376                           // 00000002209C: D86C5380 46000007
	ds_read_b32 v71, v7 offset:21440                           // 0000000220A4: D86C53C0 47000007
	ds_read_b32 v72, v7 offset:21504                           // 0000000220AC: D86C5400 48000007
	ds_read_b32 v73, v7 offset:21568                           // 0000000220B4: D86C5440 49000007
	ds_read_b32 v74, v7 offset:21632                           // 0000000220BC: D86C5480 4A000007
	ds_read_b32 v75, v7 offset:21696                           // 0000000220C4: D86C54C0 4B000007
	ds_read_b32 v76, v7 offset:21760                           // 0000000220CC: D86C5500 4C000007
	ds_read_b32 v77, v7 offset:21824                           // 0000000220D4: D86C5540 4D000007
	ds_read_b32 v78, v7 offset:21888                           // 0000000220DC: D86C5580 4E000007
	ds_read_b32 v79, v7 offset:21952                           // 0000000220E4: D86C55C0 4F000007
	v_mul_f32_e32 v41, v52, v41                                // 0000000220EC: 0A525334
	v_mov_b32_e32 v15, v160                                    // 0000000220F0: 7E1E03A0
	v_add_f32_e32 v15, v161, v15                               // 0000000220F4: 021E1FA1
	v_add_f32_e32 v15, v162, v15                               // 0000000220F8: 021E1FA2
	v_add_f32_e32 v15, v163, v15                               // 0000000220FC: 021E1FA3
	v_add_f32_e32 v15, v164, v15                               // 000000022100: 021E1FA4
	v_add_f32_e32 v15, v165, v15                               // 000000022104: 021E1FA5
	v_add_f32_e32 v15, v166, v15                               // 000000022108: 021E1FA6
	v_add_f32_e32 v15, v167, v15                               // 00000002210C: 021E1FA7
	v_add_f32_e32 v15, v168, v15                               // 000000022110: 021E1FA8
	v_add_f32_e32 v15, v169, v15                               // 000000022114: 021E1FA9
	v_add_f32_e32 v15, v170, v15                               // 000000022118: 021E1FAA
	v_add_f32_e32 v15, v171, v15                               // 00000002211C: 021E1FAB
	v_add_f32_e32 v15, v172, v15                               // 000000022120: 021E1FAC
	v_add_f32_e32 v15, v173, v15                               // 000000022124: 021E1FAD
	v_add_f32_e32 v15, v174, v15                               // 000000022128: 021E1FAE
	v_add_f32_e32 v15, v175, v15                               // 00000002212C: 021E1FAF
	v_add_f32_e32 v41, v15, v41                                // 000000022130: 0252530F
	s_waitcnt lgkmcnt(0)                                       // 000000022134: BF8CC07F
	v_max3_f32 v48, |v64|, |v65|, v48                          // 000000022138: D1D30330 04C28340
	v_max3_f32 v48, |v66|, |v67|, v48                          // 000000022140: D1D30330 04C28742
	v_max3_f32 v48, |v68|, |v69|, v48                          // 000000022148: D1D30330 04C28B44
	v_max3_f32 v48, |v70|, |v71|, v48                          // 000000022150: D1D30330 04C28F46
	v_max3_f32 v48, |v72|, |v73|, v48                          // 000000022158: D1D30330 04C29348
	v_max3_f32 v48, |v74|, |v75|, v48                          // 000000022160: D1D30330 04C2974A
	v_max3_f32 v48, |v76|, |v77|, v48                          // 000000022168: D1D30330 04C29B4C
	v_max3_f32 v48, |v78|, |v79|, v48                          // 000000022170: D1D30330 04C29F4E
	s_nop 2                                                    // 000000022178: BF800002
	v_rcp_f32_e32 v48, v48                                     // 00000002217C: 7E604530
	s_nop 1                                                    // 000000022180: BF800001
	v_mul_f32_e32 v48, 0x42fe0000, v48                         // 000000022184: 0A6060FF 42FE0000
	v_mul_f32_e32 v160, v48, v240                              // 00000002218C: 0B41E130
	v_mul_f32_e32 v161, v48, v241                              // 000000022190: 0B43E330
	v_mul_f32_e32 v162, v48, v242                              // 000000022194: 0B45E530
	v_mul_f32_e32 v163, v48, v243                              // 000000022198: 0B47E730
	v_mul_f32_e32 v164, v48, v244                              // 00000002219C: 0B49E930
	v_mul_f32_e32 v165, v48, v245                              // 0000000221A0: 0B4BEB30
	v_mul_f32_e32 v166, v48, v246                              // 0000000221A4: 0B4DED30
	v_mul_f32_e32 v167, v48, v247                              // 0000000221A8: 0B4FEF30
	v_mul_f32_e32 v168, v48, v248                              // 0000000221AC: 0B51F130
	v_mul_f32_e32 v169, v48, v249                              // 0000000221B0: 0B53F330
	v_mul_f32_e32 v170, v48, v250                              // 0000000221B4: 0B55F530
	v_mul_f32_e32 v171, v48, v251                              // 0000000221B8: 0B57F730
	v_mul_f32_e32 v172, v48, v252                              // 0000000221BC: 0B59F930
	v_mul_f32_e32 v173, v48, v253                              // 0000000221C0: 0B5BFB30
	v_mul_f32_e32 v174, v48, v254                              // 0000000221C4: 0B5DFD30
	v_mul_f32_e32 v175, v48, v255                              // 0000000221C8: 0B5FFF30
	v_cvt_i32_f32_e32 v160, v160                               // 0000000221CC: 7F4011A0
	v_cvt_i32_f32_e32 v161, v161                               // 0000000221D0: 7F4211A1
	v_cvt_i32_f32_e32 v162, v162                               // 0000000221D4: 7F4411A2
	v_cvt_i32_f32_e32 v163, v163                               // 0000000221D8: 7F4611A3
	v_cvt_i32_f32_e32 v164, v164                               // 0000000221DC: 7F4811A4
	v_cvt_i32_f32_e32 v165, v165                               // 0000000221E0: 7F4A11A5
	v_cvt_i32_f32_e32 v166, v166                               // 0000000221E4: 7F4C11A6
	v_cvt_i32_f32_e32 v167, v167                               // 0000000221E8: 7F4E11A7
	v_cvt_i32_f32_e32 v168, v168                               // 0000000221EC: 7F5011A8
	v_cvt_i32_f32_e32 v169, v169                               // 0000000221F0: 7F5211A9
	v_cvt_i32_f32_e32 v170, v170                               // 0000000221F4: 7F5411AA
	v_cvt_i32_f32_e32 v171, v171                               // 0000000221F8: 7F5611AB
	v_cvt_i32_f32_e32 v172, v172                               // 0000000221FC: 7F5811AC
	v_cvt_i32_f32_e32 v173, v173                               // 000000022200: 7F5A11AD
	v_cvt_i32_f32_e32 v174, v174                               // 000000022204: 7F5C11AE
	v_cvt_i32_f32_e32 v175, v175                               // 000000022208: 7F5E11AF
	v_perm_b32 v160, v161, v160, s53                           // 00000002220C: D1ED00A0 00D741A1
	v_perm_b32 v160, v162, v160, s54                           // 000000022214: D1ED00A0 00DB41A2
	v_perm_b32 v160, v163, v160, s55                           // 00000002221C: D1ED00A0 00DF41A3
	v_perm_b32 v161, v165, v164, s53                           // 000000022224: D1ED00A1 00D749A5
	v_perm_b32 v161, v166, v161, s54                           // 00000002222C: D1ED00A1 00DB43A6
	v_perm_b32 v161, v167, v161, s55                           // 000000022234: D1ED00A1 00DF43A7
	v_perm_b32 v162, v169, v168, s53                           // 00000002223C: D1ED00A2 00D751A9
	v_perm_b32 v162, v170, v162, s54                           // 000000022244: D1ED00A2 00DB45AA
	v_perm_b32 v162, v171, v162, s55                           // 00000002224C: D1ED00A2 00DF45AB
	v_perm_b32 v163, v173, v172, s53                           // 000000022254: D1ED00A3 00D759AD
	v_perm_b32 v163, v174, v163, s54                           // 00000002225C: D1ED00A3 00DB47AE
	v_perm_b32 v163, v175, v163, s55                           // 000000022264: D1ED00A3 00DF47AF
	ds_write_b32 v10, v160 offset:37376                        // 00000002226C: D81A9200 0000A00A
	ds_write_b32 v10, v161 offset:38400                        // 000000022274: D81A9600 0000A10A
	ds_write_b32 v10, v162 offset:39424                        // 00000002227C: D81A9A00 0000A20A
	ds_write_b32 v10, v163 offset:40448                        // 000000022284: D81A9E00 0000A30A
	v_add_f32_e32 v232, v232, v200                             // 00000002228C: 03D191E8
	v_add_f32_e32 v233, v233, v201                             // 000000022290: 03D393E9
	v_add_f32_e32 v234, v234, v202                             // 000000022294: 03D595EA
	v_add_f32_e32 v235, v235, v203                             // 000000022298: 03D797EB
	v_add_f32_e32 v236, v236, v204                             // 00000002229C: 03D999EC
	v_add_f32_e32 v237, v237, v205                             // 0000000222A0: 03DB9BED
	v_add_f32_e32 v238, v238, v206                             // 0000000222A4: 03DD9DEE
	v_add_f32_e32 v239, v239, v207                             // 0000000222A8: 03DF9FEF
	v_rcp_f32_e32 v47, v48                                     // 0000000222AC: 7E5E4530
	s_waitcnt lgkmcnt(0)                                       // 0000000222B0: BF8CC07F
	s_barrier                                                  // 0000000222B4: BF8A0000
	ds_read_b64 v[160:161], v9 offset:37376                    // 0000000222B8: D8EC9200 A0000009
	ds_read_b64 v[162:163], v9 offset:37504                    // 0000000222C0: D8EC9280 A2000009
	ds_read_b64 v[164:165], v9 offset:38400                    // 0000000222C8: D8EC9600 A4000009
	ds_read_b64 v[166:167], v9 offset:38528                    // 0000000222D0: D8EC9680 A6000009
	ds_read_b64 v[168:169], v9 offset:39424                    // 0000000222D8: D8EC9A00 A8000009
	ds_read_b64 v[170:171], v9 offset:39552                    // 0000000222E0: D8EC9A80 AA000009
	ds_read_b64 v[172:173], v9 offset:40448                    // 0000000222E8: D8EC9E00 AC000009
	ds_read_b64 v[174:175], v9 offset:40576                    // 0000000222F0: D8EC9E80 AE000009
	s_waitcnt vmcnt(15)                                        // 0000000222F8: BF8C0F7F
	v_mfma_i32_16x16x32_i8 v[176:179], a[64:65], v[112:113], 0 // 0000000222FC: D3D700B0 0A02E140
	v_mfma_i32_16x16x32_i8 v[176:179], a[66:67], v[114:115], v[176:179]// 000000022304: D3D700B0 0EC2E542
	buffer_load_dwordx4 a[112:115], v34, s[20:23], 0 offen offset:1024// 00000002230C: E05C1400 80857022
	v_mfma_i32_16x16x32_i8 v[176:179], a[68:69], v[116:117], v[176:179]// 000000022314: D3D700B0 0EC2E944
	v_mfma_i32_16x16x32_i8 v[176:179], a[70:71], v[118:119], v[176:179]// 00000002231C: D3D700B0 0EC2ED46
	v_mfma_i32_16x16x32_i8 v[176:179], a[72:73], v[120:121], v[176:179]// 000000022324: D3D700B0 0EC2F148
	v_mfma_i32_16x16x32_i8 v[176:179], a[74:75], v[122:123], v[176:179]// 00000002232C: D3D700B0 0EC2F54A
	buffer_load_dwordx4 a[116:119], v35, s[20:23], 0 offen offset:1024// 000000022334: E05C1400 80857423
	v_mfma_i32_16x16x32_i8 v[176:179], a[76:77], v[124:125], v[176:179]// 00000002233C: D3D700B0 0EC2F94C
	v_mfma_i32_16x16x32_i8 v[176:179], a[78:79], v[126:127], v[176:179]// 000000022344: D3D700B0 0EC2FD4E
	v_mfma_i32_16x16x32_i8 v[180:183], a[80:81], v[112:113], 0 // 00000002234C: D3D700B4 0A02E150
	v_mfma_i32_16x16x32_i8 v[180:183], a[82:83], v[114:115], v[180:183]// 000000022354: D3D700B4 0ED2E552
	buffer_load_dwordx4 a[120:123], v36, s[20:23], 0 offen offset:1024// 00000002235C: E05C1400 80857824
	v_mfma_i32_16x16x32_i8 v[180:183], a[84:85], v[116:117], v[180:183]// 000000022364: D3D700B4 0ED2E954
	v_mfma_i32_16x16x32_i8 v[180:183], a[86:87], v[118:119], v[180:183]// 00000002236C: D3D700B4 0ED2ED56
	v_mfma_i32_16x16x32_i8 v[180:183], a[88:89], v[120:121], v[180:183]// 000000022374: D3D700B4 0ED2F158
	v_mfma_i32_16x16x32_i8 v[180:183], a[90:91], v[122:123], v[180:183]// 00000002237C: D3D700B4 0ED2F55A
	buffer_load_dwordx4 a[124:127], v37, s[20:23], 0 offen offset:1024// 000000022384: E05C1400 80857C25
	v_mfma_i32_16x16x32_i8 v[180:183], a[92:93], v[124:125], v[180:183]// 00000002238C: D3D700B4 0ED2F95C
	s_lshr_b32 s57, s70, 4                                     // 000000022394: 8F398446
	s_add_u32 s57, 48, s57                                     // 000000022398: 803939B0
	v_mfma_i32_16x16x32_i8 v[180:183], a[94:95], v[126:127], v[180:183]// 00000002239C: D3D700B4 0ED2FD5E
	s_cmp_ge_u32 s57, s73                                      // 0000000223A4: BF094939
	s_cselect_b32 s56, 0, s56                                  // 0000000223A8: 85383880
	v_mfma_i32_16x16x32_i8 v[184:187], a[64:65], v[128:129], 0 // 0000000223AC: D3D700B8 0A030140
	v_mfma_i32_16x16x32_i8 v[184:187], a[66:67], v[130:131], v[184:187]// 0000000223B4: D3D700B8 0EE30542
	v_mfma_i32_16x16x32_i8 v[184:187], a[68:69], v[132:133], v[184:187]// 0000000223BC: D3D700B8 0EE30944
	v_mfma_i32_16x16x32_i8 v[184:187], a[70:71], v[134:135], v[184:187]// 0000000223C4: D3D700B8 0EE30D46
	v_mfma_i32_16x16x32_i8 v[184:187], a[72:73], v[136:137], v[184:187]// 0000000223CC: D3D700B8 0EE31148
	v_mfma_i32_16x16x32_i8 v[184:187], a[74:75], v[138:139], v[184:187]// 0000000223D4: D3D700B8 0EE3154A
	v_mfma_i32_16x16x32_i8 v[184:187], a[76:77], v[140:141], v[184:187]// 0000000223DC: D3D700B8 0EE3194C
	v_mfma_i32_16x16x32_i8 v[184:187], a[78:79], v[142:143], v[184:187]// 0000000223E4: D3D700B8 0EE31D4E
	v_mfma_i32_16x16x32_i8 v[188:191], a[80:81], v[128:129], 0 // 0000000223EC: D3D700BC 0A030150
	v_mfma_i32_16x16x32_i8 v[188:191], a[82:83], v[130:131], v[188:191]// 0000000223F4: D3D700BC 0EF30552
	v_mfma_i32_16x16x32_i8 v[188:191], a[84:85], v[132:133], v[188:191]// 0000000223FC: D3D700BC 0EF30954
	v_mfma_i32_16x16x32_i8 v[188:191], a[86:87], v[134:135], v[188:191]// 000000022404: D3D700BC 0EF30D56
	v_mfma_i32_16x16x32_i8 v[188:191], a[88:89], v[136:137], v[188:191]// 00000002240C: D3D700BC 0EF31158
	v_mfma_i32_16x16x32_i8 v[188:191], a[90:91], v[138:139], v[188:191]// 000000022414: D3D700BC 0EF3155A
	v_mfma_i32_16x16x32_i8 v[188:191], a[92:93], v[140:141], v[188:191]// 00000002241C: D3D700BC 0EF3195C
	v_mfma_i32_16x16x32_i8 v[188:191], a[94:95], v[142:143], v[188:191]// 000000022424: D3D700BC 0EF31D5E
	v_mfma_i32_16x16x32_i8 v[192:195], a[64:65], v[144:145], 0 // 00000002242C: D3D700C0 0A032140
	v_mfma_i32_16x16x32_i8 v[192:195], a[66:67], v[146:147], v[192:195]// 000000022434: D3D700C0 0F032542
	v_mfma_i32_16x16x32_i8 v[192:195], a[68:69], v[148:149], v[192:195]// 00000002243C: D3D700C0 0F032944
	v_mfma_i32_16x16x32_i8 v[192:195], a[70:71], v[150:151], v[192:195]// 000000022444: D3D700C0 0F032D46
	v_mfma_i32_16x16x32_i8 v[192:195], a[72:73], v[152:153], v[192:195]// 00000002244C: D3D700C0 0F033148
	v_mfma_i32_16x16x32_i8 v[192:195], a[74:75], v[154:155], v[192:195]// 000000022454: D3D700C0 0F03354A
	v_mfma_i32_16x16x32_i8 v[192:195], a[76:77], v[156:157], v[192:195]// 00000002245C: D3D700C0 0F03394C
	v_mfma_i32_16x16x32_i8 v[192:195], a[78:79], v[158:159], v[192:195]// 000000022464: D3D700C0 0F033D4E
	v_mfma_i32_16x16x32_i8 v[196:199], a[80:81], v[144:145], 0 // 00000002246C: D3D700C4 0A032150
	v_mfma_i32_16x16x32_i8 v[196:199], a[82:83], v[146:147], v[196:199]// 000000022474: D3D700C4 0F132552
	v_mfma_i32_16x16x32_i8 v[196:199], a[84:85], v[148:149], v[196:199]// 00000002247C: D3D700C4 0F132954
	v_mfma_i32_16x16x32_i8 v[196:199], a[86:87], v[150:151], v[196:199]// 000000022484: D3D700C4 0F132D56
	v_mfma_i32_16x16x32_i8 v[196:199], a[88:89], v[152:153], v[196:199]// 00000002248C: D3D700C4 0F133158
	v_mfma_i32_16x16x32_i8 v[196:199], a[90:91], v[154:155], v[196:199]// 000000022494: D3D700C4 0F13355A
	v_mfma_i32_16x16x32_i8 v[196:199], a[92:93], v[156:157], v[196:199]// 00000002249C: D3D700C4 0F13395C
	v_mfma_i32_16x16x32_i8 v[196:199], a[94:95], v[158:159], v[196:199]// 0000000224A4: D3D700C4 0F133D5E
	v_mfma_i32_16x16x32_i8 v[200:203], a[64:65], v[160:161], 0 // 0000000224AC: D3D700C8 0A034140
	v_mfma_i32_16x16x32_i8 v[200:203], a[66:67], v[162:163], v[200:203]// 0000000224B4: D3D700C8 0F234542
	v_mfma_i32_16x16x32_i8 v[200:203], a[68:69], v[164:165], v[200:203]// 0000000224BC: D3D700C8 0F234944
	v_mfma_i32_16x16x32_i8 v[200:203], a[70:71], v[166:167], v[200:203]// 0000000224C4: D3D700C8 0F234D46
	v_mfma_i32_16x16x32_i8 v[200:203], a[72:73], v[168:169], v[200:203]// 0000000224CC: D3D700C8 0F235148
	v_mfma_i32_16x16x32_i8 v[200:203], a[74:75], v[170:171], v[200:203]// 0000000224D4: D3D700C8 0F23554A
	v_mfma_i32_16x16x32_i8 v[200:203], a[76:77], v[172:173], v[200:203]// 0000000224DC: D3D700C8 0F23594C
	v_mfma_i32_16x16x32_i8 v[200:203], a[78:79], v[174:175], v[200:203]// 0000000224E4: D3D700C8 0F235D4E
	v_mfma_i32_16x16x32_i8 v[204:207], a[80:81], v[160:161], 0 // 0000000224EC: D3D700CC 0A034150
	v_mfma_i32_16x16x32_i8 v[204:207], a[82:83], v[162:163], v[204:207]// 0000000224F4: D3D700CC 0F334552
	v_mfma_i32_16x16x32_i8 v[204:207], a[84:85], v[164:165], v[204:207]// 0000000224FC: D3D700CC 0F334954
	v_mfma_i32_16x16x32_i8 v[204:207], a[86:87], v[166:167], v[204:207]// 000000022504: D3D700CC 0F334D56
	v_mfma_i32_16x16x32_i8 v[204:207], a[88:89], v[168:169], v[204:207]// 00000002250C: D3D700CC 0F335158
	v_mfma_i32_16x16x32_i8 v[204:207], a[90:91], v[170:171], v[204:207]// 000000022514: D3D700CC 0F33555A
	v_mfma_i32_16x16x32_i8 v[204:207], a[92:93], v[172:173], v[204:207]// 00000002251C: D3D700CC 0F33595C
	v_mfma_i32_16x16x32_i8 v[204:207], a[94:95], v[174:175], v[204:207]// 000000022524: D3D700CC 0F335D5E
	v_add_u32_e32 v1, s56, v1                                  // 00000002252C: 68020238
	s_addk_i32 s70, 0x100                                      // 000000022530: B7460100
	s_cmp_lt_i32 s70, s71                                      // 000000022534: BF044746
	s_cbranch_scc0 label_8B8B                                  // 000000022538: BF840ABC
	s_waitcnt vmcnt(8) lgkmcnt(0)                              // 00000002253C: BF8C0078
	v_mul_u32_u24_dpp v64, v16, v54 row_newbcast:0 row_mask:0xf bank_mask:0xf// 000000022540: 10806CFA FF015010
	v_mul_u32_u24_dpp v65, v16, v54 row_newbcast:4 row_mask:0xf bank_mask:0xf// 000000022548: 10826CFA FF015410
	v_mul_u32_u24_dpp v66, v16, v54 row_newbcast:8 row_mask:0xf bank_mask:0xf// 000000022550: 10846CFA FF015810
	v_mul_u32_u24_dpp v67, v16, v54 row_newbcast:12 row_mask:0xf bank_mask:0xf// 000000022558: 10866CFA FF015C10
	v_add_u32_e32 v22, v64, v5                                 // 000000022560: 682C0B40
	v_add_u32_e32 v23, v65, v5                                 // 000000022564: 682E0B41
	v_add_u32_e32 v24, v66, v5                                 // 000000022568: 68300B42
	v_add_u32_e32 v25, v67, v5                                 // 00000002256C: 68320B43
	v_mul_u32_u24_dpp v64, v16, v63 quad_perm:[0,0,0,0] row_mask:0xf bank_mask:0xf// 000000022570: 10807EFA FF000010
	v_add_u32_e32 v2, v64, v59                                 // 000000022578: 68047740
	v_mul_u32_u24_dpp v64, v16, v63 quad_perm:[0,0,0,0] row_mask:0xf bank_mask:0xf// 00000002257C: 10807EFA FF000010
	v_add_u32_e32 v55, v64, v60                                // 000000022584: 686E7940
	v_mfma_i32_16x16x32_i8 v[112:115], a[32:33], v[80:81], 0   // 000000022588: D3D70070 0A02A120
	v_mfma_i32_16x16x32_i8 v[112:115], a[34:35], v[82:83], v[112:115]// 000000022590: D3D70070 0DC2A522
	buffer_load_dwordx4 a[0:3], v22, s[16:19], 0 offen         // 000000022598: E05C1000 80840016
	v_mfma_i32_16x16x32_i8 v[112:115], a[36:37], v[84:85], v[112:115]// 0000000225A0: D3D70070 0DC2A924
	v_mfma_i32_16x16x32_i8 v[112:115], a[38:39], v[86:87], v[112:115]// 0000000225A8: D3D70070 0DC2AD26
	buffer_load_dword v17, v1, s[24:27], 0 offen               // 0000000225B0: E0501000 80061101
	v_mfma_i32_16x16x32_i8 v[116:119], a[40:41], v[80:81], 0   // 0000000225B8: D3D70074 0A02A128
	v_mfma_i32_16x16x32_i8 v[116:119], a[42:43], v[82:83], v[116:119]// 0000000225C0: D3D70074 0DD2A52A
	buffer_load_dwordx4 a[4:7], v22, s[16:19], 0 offen offset:1024// 0000000225C8: E05C1400 80840416
	v_mfma_i32_16x16x32_i8 v[116:119], a[44:45], v[84:85], v[116:119]// 0000000225D0: D3D70074 0DD2A92C
	v_mfma_i32_16x16x32_i8 v[116:119], a[46:47], v[86:87], v[116:119]// 0000000225D8: D3D70074 0DD2AD2E
	v_mfma_i32_16x16x32_i8 v[120:123], a[48:49], v[80:81], 0   // 0000000225E0: D3D70078 0A02A130
	v_mfma_i32_16x16x32_i8 v[120:123], a[50:51], v[82:83], v[120:123]// 0000000225E8: D3D70078 0DE2A532
	buffer_load_dwordx4 a[8:11], v23, s[16:19], 0 offen        // 0000000225F0: E05C1000 80840817
	v_mfma_i32_16x16x32_i8 v[120:123], a[52:53], v[84:85], v[120:123]// 0000000225F8: D3D70078 0DE2A934
	v_mfma_i32_16x16x32_i8 v[120:123], a[54:55], v[86:87], v[120:123]// 000000022600: D3D70078 0DE2AD36
	v_mfma_i32_16x16x32_i8 v[124:127], a[56:57], v[80:81], 0   // 000000022608: D3D7007C 0A02A138
	v_mfma_i32_16x16x32_i8 v[124:127], a[58:59], v[82:83], v[124:127]// 000000022610: D3D7007C 0DF2A53A
	buffer_load_dwordx4 a[12:15], v23, s[16:19], 0 offen offset:1024// 000000022618: E05C1400 80840C17
	v_mfma_i32_16x16x32_i8 v[124:127], a[60:61], v[84:85], v[124:127]// 000000022620: D3D7007C 0DF2A93C
	v_mfma_i32_16x16x32_i8 v[124:127], a[62:63], v[86:87], v[124:127]// 000000022628: D3D7007C 0DF2AD3E
	v_mfma_i32_16x16x32_i8 v[128:131], a[32:33], v[88:89], 0   // 000000022630: D3D70080 0A02B120
	v_mfma_i32_16x16x32_i8 v[128:131], a[34:35], v[90:91], v[128:131]// 000000022638: D3D70080 0E02B522
	v_mfma_i32_16x16x32_i8 v[128:131], a[36:37], v[92:93], v[128:131]// 000000022640: D3D70080 0E02B924
	v_mfma_i32_16x16x32_i8 v[128:131], a[38:39], v[94:95], v[128:131]// 000000022648: D3D70080 0E02BD26
	v_mfma_i32_16x16x32_i8 v[132:135], a[40:41], v[88:89], 0   // 000000022650: D3D70084 0A02B128
	v_mfma_i32_16x16x32_i8 v[132:135], a[42:43], v[90:91], v[132:135]// 000000022658: D3D70084 0E12B52A
	v_mfma_i32_16x16x32_i8 v[132:135], a[44:45], v[92:93], v[132:135]// 000000022660: D3D70084 0E12B92C
	v_mfma_i32_16x16x32_i8 v[132:135], a[46:47], v[94:95], v[132:135]// 000000022668: D3D70084 0E12BD2E
	v_mfma_i32_16x16x32_i8 v[136:139], a[48:49], v[88:89], 0   // 000000022670: D3D70088 0A02B130
	v_mfma_i32_16x16x32_i8 v[136:139], a[50:51], v[90:91], v[136:139]// 000000022678: D3D70088 0E22B532
	v_mfma_i32_16x16x32_i8 v[136:139], a[52:53], v[92:93], v[136:139]// 000000022680: D3D70088 0E22B934
	v_mfma_i32_16x16x32_i8 v[136:139], a[54:55], v[94:95], v[136:139]// 000000022688: D3D70088 0E22BD36
	v_mfma_i32_16x16x32_i8 v[140:143], a[56:57], v[88:89], 0   // 000000022690: D3D7008C 0A02B138
	v_mfma_i32_16x16x32_i8 v[140:143], a[58:59], v[90:91], v[140:143]// 000000022698: D3D7008C 0E32B53A
	v_mfma_i32_16x16x32_i8 v[140:143], a[60:61], v[92:93], v[140:143]// 0000000226A0: D3D7008C 0E32B93C
	v_mfma_i32_16x16x32_i8 v[140:143], a[62:63], v[94:95], v[140:143]// 0000000226A8: D3D7008C 0E32BD3E
	v_mfma_i32_16x16x32_i8 v[144:147], a[32:33], v[96:97], 0   // 0000000226B0: D3D70090 0A02C120
	v_mfma_i32_16x16x32_i8 v[144:147], a[34:35], v[98:99], v[144:147]// 0000000226B8: D3D70090 0E42C522
	v_mfma_i32_16x16x32_i8 v[144:147], a[36:37], v[100:101], v[144:147]// 0000000226C0: D3D70090 0E42C924
	v_mfma_i32_16x16x32_i8 v[144:147], a[38:39], v[102:103], v[144:147]// 0000000226C8: D3D70090 0E42CD26
	v_mfma_i32_16x16x32_i8 v[148:151], a[40:41], v[96:97], 0   // 0000000226D0: D3D70094 0A02C128
	v_mfma_i32_16x16x32_i8 v[148:151], a[42:43], v[98:99], v[148:151]// 0000000226D8: D3D70094 0E52C52A
	v_mfma_i32_16x16x32_i8 v[148:151], a[44:45], v[100:101], v[148:151]// 0000000226E0: D3D70094 0E52C92C
	v_mfma_i32_16x16x32_i8 v[148:151], a[46:47], v[102:103], v[148:151]// 0000000226E8: D3D70094 0E52CD2E
	v_mfma_i32_16x16x32_i8 v[152:155], a[48:49], v[96:97], 0   // 0000000226F0: D3D70098 0A02C130
	v_mfma_i32_16x16x32_i8 v[152:155], a[50:51], v[98:99], v[152:155]// 0000000226F8: D3D70098 0E62C532
	v_mfma_i32_16x16x32_i8 v[152:155], a[52:53], v[100:101], v[152:155]// 000000022700: D3D70098 0E62C934
	v_mfma_i32_16x16x32_i8 v[152:155], a[54:55], v[102:103], v[152:155]// 000000022708: D3D70098 0E62CD36
	v_mfma_i32_16x16x32_i8 v[156:159], a[56:57], v[96:97], 0   // 000000022710: D3D7009C 0A02C138
	v_mfma_i32_16x16x32_i8 v[156:159], a[58:59], v[98:99], v[156:159]// 000000022718: D3D7009C 0E72C53A
	v_mfma_i32_16x16x32_i8 v[156:159], a[60:61], v[100:101], v[156:159]// 000000022720: D3D7009C 0E72C93C
	v_mfma_i32_16x16x32_i8 v[156:159], a[62:63], v[102:103], v[156:159]// 000000022728: D3D7009C 0E72CD3E
	v_mfma_i32_16x16x32_i8 v[160:163], a[32:33], v[104:105], 0 // 000000022730: D3D700A0 0A02D120
	v_mfma_i32_16x16x32_i8 v[160:163], a[34:35], v[106:107], v[160:163]// 000000022738: D3D700A0 0E82D522
	v_mfma_i32_16x16x32_i8 v[160:163], a[36:37], v[108:109], v[160:163]// 000000022740: D3D700A0 0E82D924
	v_mfma_i32_16x16x32_i8 v[160:163], a[38:39], v[110:111], v[160:163]// 000000022748: D3D700A0 0E82DD26
	v_mfma_i32_16x16x32_i8 v[164:167], a[40:41], v[104:105], 0 // 000000022750: D3D700A4 0A02D128
	v_mfma_i32_16x16x32_i8 v[164:167], a[42:43], v[106:107], v[164:167]// 000000022758: D3D700A4 0E92D52A
	v_mfma_i32_16x16x32_i8 v[164:167], a[44:45], v[108:109], v[164:167]// 000000022760: D3D700A4 0E92D92C
	v_mfma_i32_16x16x32_i8 v[164:167], a[46:47], v[110:111], v[164:167]// 000000022768: D3D700A4 0E92DD2E
	v_mfma_i32_16x16x32_i8 v[168:171], a[48:49], v[104:105], 0 // 000000022770: D3D700A8 0A02D130
	v_mfma_i32_16x16x32_i8 v[168:171], a[50:51], v[106:107], v[168:171]// 000000022778: D3D700A8 0EA2D532
	v_mfma_i32_16x16x32_i8 v[168:171], a[52:53], v[108:109], v[168:171]// 000000022780: D3D700A8 0EA2D934
	v_mfma_i32_16x16x32_i8 v[168:171], a[54:55], v[110:111], v[168:171]// 000000022788: D3D700A8 0EA2DD36
	v_mfma_i32_16x16x32_i8 v[172:175], a[56:57], v[104:105], 0 // 000000022790: D3D700AC 0A02D138
	v_mfma_i32_16x16x32_i8 v[172:175], a[58:59], v[106:107], v[172:175]// 000000022798: D3D700AC 0EB2D53A
	v_mfma_i32_16x16x32_i8 v[172:175], a[60:61], v[108:109], v[172:175]// 0000000227A0: D3D700AC 0EB2D93C
	v_mfma_i32_16x16x32_i8 v[172:175], a[62:63], v[110:111], v[172:175]// 0000000227A8: D3D700AC 0EB2DD3E
	buffer_load_dword v42, v2, s[32:35], 0 offen               // 0000000227B0: E0501000 80082A02
	v_mov_b32_dpp v64, v43 row_shr:4 row_mask:0xf bank_mask:0xf// 0000000227B8: 7E8002FA FF01142B
	v_mov_b32_dpp v65, v43 row_shl:4 row_mask:0xf bank_mask:0xf// 0000000227C0: 7E8202FA FF01042B
	v_cndmask_b32_e64 v248, v43, v64, s[44:45]                 // 0000000227C8: D10000F8 00B2812B
	v_cndmask_b32_e64 v249, v65, v43, s[44:45]                 // 0000000227D0: D10000F9 00B25741
	v_mov_b32_dpp v64, v248 row_shr:8 row_mask:0xf bank_mask:0xf// 0000000227D8: 7E8002FA FF0118F8
	v_mov_b32_dpp v65, v248 row_shl:8 row_mask:0xf bank_mask:0xf// 0000000227E0: 7E8202FA FF0108F8
	v_mov_b32_dpp v66, v249 row_shr:8 row_mask:0xf bank_mask:0xf// 0000000227E8: 7E8402FA FF0118F9
	v_mov_b32_dpp v67, v249 row_shl:8 row_mask:0xf bank_mask:0xf// 0000000227F0: 7E8602FA FF0108F9
	v_mov_b32_e32 v68, v248                                    // 0000000227F8: 7E8803F8
	v_mov_b32_e32 v69, v249                                    // 0000000227FC: 7E8A03F9
	v_cndmask_b32_e64 v248, v68, v64, s[42:43]                 // 000000022800: D10000F8 00AA8144
	v_cndmask_b32_e64 v250, v68, v65, s[78:79]                 // 000000022808: D10000FA 013A8344
	v_cndmask_b32_e64 v249, v69, v66, s[42:43]                 // 000000022810: D10000F9 00AA8545
	v_cndmask_b32_e64 v251, v69, v67, s[78:79]                 // 000000022818: D10000FB 013A8745
	v_mov_b32_dpp v64, v58 row_shr:4 row_mask:0xf bank_mask:0xf// 000000022820: 7E8002FA FF01143A
	v_mov_b32_dpp v65, v58 row_shl:4 row_mask:0xf bank_mask:0xf// 000000022828: 7E8202FA FF01043A
	v_cndmask_b32_e64 v252, v58, v64, s[44:45]                 // 000000022830: D10000FC 00B2813A
	v_cndmask_b32_e64 v253, v65, v58, s[44:45]                 // 000000022838: D10000FD 00B27541
	v_mov_b32_dpp v64, v252 row_shr:8 row_mask:0xf bank_mask:0xf// 000000022840: 7E8002FA FF0118FC
	v_mov_b32_dpp v65, v252 row_shl:8 row_mask:0xf bank_mask:0xf// 000000022848: 7E8202FA FF0108FC
	v_mov_b32_dpp v66, v253 row_shr:8 row_mask:0xf bank_mask:0xf// 000000022850: 7E8402FA FF0118FD
	v_mov_b32_dpp v67, v253 row_shl:8 row_mask:0xf bank_mask:0xf// 000000022858: 7E8602FA FF0108FD
	v_mov_b32_e32 v68, v252                                    // 000000022860: 7E8803FC
	v_mov_b32_e32 v69, v253                                    // 000000022864: 7E8A03FD
	v_cndmask_b32_e64 v252, v68, v64, s[42:43]                 // 000000022868: D10000FC 00AA8144
	v_cndmask_b32_e64 v254, v68, v65, s[78:79]                 // 000000022870: D10000FE 013A8344
	v_cndmask_b32_e64 v253, v69, v66, s[42:43]                 // 000000022878: D10000FD 00AA8545
	v_cndmask_b32_e64 v255, v69, v67, s[78:79]                 // 000000022880: D10000FF 013A8745
	buffer_load_dword v57, v55, s[36:39], 0 offen              // 000000022888: E0501000 80093937
	v_cvt_f32_i32_e32 v112, v112                               // 000000022890: 7EE00B70
	v_cvt_f32_i32_e32 v113, v113                               // 000000022894: 7EE20B71
	v_cvt_f32_i32_e32 v114, v114                               // 000000022898: 7EE40B72
	v_cvt_f32_i32_e32 v115, v115                               // 00000002289C: 7EE60B73
	v_cvt_f32_i32_e32 v116, v116                               // 0000000228A0: 7EE80B74
	v_cvt_f32_i32_e32 v117, v117                               // 0000000228A4: 7EEA0B75
	v_cvt_f32_i32_e32 v118, v118                               // 0000000228A8: 7EEC0B76
	v_cvt_f32_i32_e32 v119, v119                               // 0000000228AC: 7EEE0B77
	v_cvt_f32_i32_e32 v120, v120                               // 0000000228B0: 7EF00B78
	v_cvt_f32_i32_e32 v121, v121                               // 0000000228B4: 7EF20B79
	v_cvt_f32_i32_e32 v122, v122                               // 0000000228B8: 7EF40B7A
	v_cvt_f32_i32_e32 v123, v123                               // 0000000228BC: 7EF60B7B
	v_cvt_f32_i32_e32 v124, v124                               // 0000000228C0: 7EF80B7C
	v_cvt_f32_i32_e32 v125, v125                               // 0000000228C4: 7EFA0B7D
	v_cvt_f32_i32_e32 v126, v126                               // 0000000228C8: 7EFC0B7E
	v_cvt_f32_i32_e32 v127, v127                               // 0000000228CC: 7EFE0B7F
	v_mul_f32_e32 v112, v18, v112                              // 0000000228D0: 0AE0E112
	v_mul_f32_e32 v113, v18, v113                              // 0000000228D4: 0AE2E312
	v_mul_f32_e32 v114, v18, v114                              // 0000000228D8: 0AE4E512
	v_mul_f32_e32 v115, v18, v115                              // 0000000228DC: 0AE6E712
	v_mul_f32_e32 v116, v18, v116                              // 0000000228E0: 0AE8E912
	v_mul_f32_e32 v117, v18, v117                              // 0000000228E4: 0AEAEB12
	v_mul_f32_e32 v118, v18, v118                              // 0000000228E8: 0AECED12
	v_mul_f32_e32 v119, v18, v119                              // 0000000228EC: 0AEEEF12
	v_mul_f32_e32 v120, v18, v120                              // 0000000228F0: 0AF0F112
	v_mul_f32_e32 v121, v18, v121                              // 0000000228F4: 0AF2F312
	v_mul_f32_e32 v122, v18, v122                              // 0000000228F8: 0AF4F512
	v_mul_f32_e32 v123, v18, v123                              // 0000000228FC: 0AF6F712
	v_mul_f32_e32 v124, v18, v124                              // 000000022900: 0AF8F912
	v_mul_f32_e32 v125, v18, v125                              // 000000022904: 0AFAFB12
	v_mul_f32_e32 v126, v18, v126                              // 000000022908: 0AFCFD12
	v_mul_f32_e32 v127, v18, v127                              // 00000002290C: 0AFEFF12
	buffer_load_dwordx4 a[16:19], v24, s[16:19], 0 offen       // 000000022910: E05C1000 80841018
	v_mul_f32_dpp v112, v248, v112 quad_perm:[0,0,0,0] row_mask:0xf bank_mask:0xf// 000000022918: 0AE0E0FA FF0000F8
	v_mul_f32_dpp v113, v248, v113 quad_perm:[1,1,1,1] row_mask:0xf bank_mask:0xf// 000000022920: 0AE2E2FA FF0055F8
	v_mul_f32_dpp v114, v248, v114 quad_perm:[2,2,2,2] row_mask:0xf bank_mask:0xf// 000000022928: 0AE4E4FA FF00AAF8
	v_mul_f32_dpp v115, v248, v115 quad_perm:[3,3,3,3] row_mask:0xf bank_mask:0xf// 000000022930: 0AE6E6FA FF00FFF8
	v_mul_f32_dpp v116, v249, v116 quad_perm:[0,0,0,0] row_mask:0xf bank_mask:0xf// 000000022938: 0AE8E8FA FF0000F9
	v_mul_f32_dpp v117, v249, v117 quad_perm:[1,1,1,1] row_mask:0xf bank_mask:0xf// 000000022940: 0AEAEAFA FF0055F9
	v_mul_f32_dpp v118, v249, v118 quad_perm:[2,2,2,2] row_mask:0xf bank_mask:0xf// 000000022948: 0AECECFA FF00AAF9
	v_mul_f32_dpp v119, v249, v119 quad_perm:[3,3,3,3] row_mask:0xf bank_mask:0xf// 000000022950: 0AEEEEFA FF00FFF9
	v_mul_f32_dpp v120, v250, v120 quad_perm:[0,0,0,0] row_mask:0xf bank_mask:0xf// 000000022958: 0AF0F0FA FF0000FA
	v_mul_f32_dpp v121, v250, v121 quad_perm:[1,1,1,1] row_mask:0xf bank_mask:0xf// 000000022960: 0AF2F2FA FF0055FA
	v_mul_f32_dpp v122, v250, v122 quad_perm:[2,2,2,2] row_mask:0xf bank_mask:0xf// 000000022968: 0AF4F4FA FF00AAFA
	v_mul_f32_dpp v123, v250, v123 quad_perm:[3,3,3,3] row_mask:0xf bank_mask:0xf// 000000022970: 0AF6F6FA FF00FFFA
	v_mul_f32_dpp v124, v251, v124 quad_perm:[0,0,0,0] row_mask:0xf bank_mask:0xf// 000000022978: 0AF8F8FA FF0000FB
	v_mul_f32_dpp v125, v251, v125 quad_perm:[1,1,1,1] row_mask:0xf bank_mask:0xf// 000000022980: 0AFAFAFA FF0055FB
	v_mul_f32_dpp v126, v251, v126 quad_perm:[2,2,2,2] row_mask:0xf bank_mask:0xf// 000000022988: 0AFCFCFA FF00AAFB
	v_mul_f32_dpp v127, v251, v127 quad_perm:[3,3,3,3] row_mask:0xf bank_mask:0xf// 000000022990: 0AFEFEFA FF00FFFB
	buffer_load_dwordx4 a[20:23], v24, s[16:19], 0 offen offset:1024// 000000022998: E05C1400 80841418
	s_cmp_le_i32 s90, s89                                      // 0000000229A0: BF05595A
	s_cbranch_scc1 label_825B                                  // 0000000229A4: BF850071
	v_mov_b32_e32 v66, 0xff800000                              // 0000000229A8: 7E8402FF FF800000
	s_mov_b32 s60, s90                                         // 0000000229B0: BEBC005A
	s_add_u32 s61, s89, 0xff                                   // 0000000229B4: 803DFF59 000000FF
	v_mov_b32_e32 v64, s61                                     // 0000000229BC: 7E80023D
	v_lshrrev_b32_e32 v240, 4, v0                              // 0000000229C0: 21E00084
	v_mul_i32_i24_e32 v240, 4, v240                            // 0000000229C4: 0DE1E084
	v_add_u32_e32 v240, s60, v240                              // 0000000229C8: 69E1E03C
	s_mov_b32 s61, 0                                           // 0000000229CC: BEBD0080
	s_mul_i32 s60, 16, s7                                      // 0000000229D0: 923C0790
	v_sub_u32_e64 v240, v240, s61                              // 0000000229D4: D13500F0 00007BF0
	v_add_u32_e32 v240, s60, v240                              // 0000000229DC: 69E1E03C
	v_add_u32_e32 v241, 1, v240                                // 0000000229E0: 69E3E081
	v_add_u32_e32 v242, 2, v240                                // 0000000229E4: 69E5E082
	v_add_u32_e32 v243, 3, v240                                // 0000000229E8: 69E7E083
	v_cmp_le_u32_e64 s[40:41], v240, v64                       // 0000000229EC: D0CB0028 000281F0
	v_add_u32_e32 v240, 64, v240                               // 0000000229F4: 69E1E0C0
	s_nop 0                                                    // 0000000229F8: BF800000
	v_cndmask_b32_e64 v112, v66, v112, s[40:41]                // 0000000229FC: D1000070 00A2E142
	v_cmp_le_u32_e64 s[40:41], v241, v64                       // 000000022A04: D0CB0028 000281F1
	v_add_u32_e32 v241, 64, v241                               // 000000022A0C: 69E3E2C0
	s_nop 0                                                    // 000000022A10: BF800000
	v_cndmask_b32_e64 v113, v66, v113, s[40:41]                // 000000022A14: D1000071 00A2E342
	v_cmp_le_u32_e64 s[40:41], v242, v64                       // 000000022A1C: D0CB0028 000281F2
	v_add_u32_e32 v242, 64, v242                               // 000000022A24: 69E5E4C0
	s_nop 0                                                    // 000000022A28: BF800000
	v_cndmask_b32_e64 v114, v66, v114, s[40:41]                // 000000022A2C: D1000072 00A2E542
	v_cmp_le_u32_e64 s[40:41], v243, v64                       // 000000022A34: D0CB0028 000281F3
	v_add_u32_e32 v243, 64, v243                               // 000000022A3C: 69E7E6C0
	s_nop 0                                                    // 000000022A40: BF800000
	v_cndmask_b32_e64 v115, v66, v115, s[40:41]                // 000000022A44: D1000073 00A2E742
	v_cmp_le_u32_e64 s[40:41], v240, v64                       // 000000022A4C: D0CB0028 000281F0
	v_add_u32_e32 v240, 64, v240                               // 000000022A54: 69E1E0C0
	s_nop 0                                                    // 000000022A58: BF800000
	v_cndmask_b32_e64 v116, v66, v116, s[40:41]                // 000000022A5C: D1000074 00A2E942
	v_cmp_le_u32_e64 s[40:41], v241, v64                       // 000000022A64: D0CB0028 000281F1
	v_add_u32_e32 v241, 64, v241                               // 000000022A6C: 69E3E2C0
	s_nop 0                                                    // 000000022A70: BF800000
	v_cndmask_b32_e64 v117, v66, v117, s[40:41]                // 000000022A74: D1000075 00A2EB42
	v_cmp_le_u32_e64 s[40:41], v242, v64                       // 000000022A7C: D0CB0028 000281F2
	v_add_u32_e32 v242, 64, v242                               // 000000022A84: 69E5E4C0
	s_nop 0                                                    // 000000022A88: BF800000
	v_cndmask_b32_e64 v118, v66, v118, s[40:41]                // 000000022A8C: D1000076 00A2ED42
	v_cmp_le_u32_e64 s[40:41], v243, v64                       // 000000022A94: D0CB0028 000281F3
	v_add_u32_e32 v243, 64, v243                               // 000000022A9C: 69E7E6C0
	s_nop 0                                                    // 000000022AA0: BF800000
	v_cndmask_b32_e64 v119, v66, v119, s[40:41]                // 000000022AA4: D1000077 00A2EF42
	v_cmp_le_u32_e64 s[40:41], v240, v64                       // 000000022AAC: D0CB0028 000281F0
	v_add_u32_e32 v240, 64, v240                               // 000000022AB4: 69E1E0C0
	s_nop 0                                                    // 000000022AB8: BF800000
	v_cndmask_b32_e64 v120, v66, v120, s[40:41]                // 000000022ABC: D1000078 00A2F142
	v_cmp_le_u32_e64 s[40:41], v241, v64                       // 000000022AC4: D0CB0028 000281F1
	v_add_u32_e32 v241, 64, v241                               // 000000022ACC: 69E3E2C0
	s_nop 0                                                    // 000000022AD0: BF800000
	v_cndmask_b32_e64 v121, v66, v121, s[40:41]                // 000000022AD4: D1000079 00A2F342
	v_cmp_le_u32_e64 s[40:41], v242, v64                       // 000000022ADC: D0CB0028 000281F2
	v_add_u32_e32 v242, 64, v242                               // 000000022AE4: 69E5E4C0
	s_nop 0                                                    // 000000022AE8: BF800000
	v_cndmask_b32_e64 v122, v66, v122, s[40:41]                // 000000022AEC: D100007A 00A2F542
	v_cmp_le_u32_e64 s[40:41], v243, v64                       // 000000022AF4: D0CB0028 000281F3
	v_add_u32_e32 v243, 64, v243                               // 000000022AFC: 69E7E6C0
	s_nop 0                                                    // 000000022B00: BF800000
	v_cndmask_b32_e64 v123, v66, v123, s[40:41]                // 000000022B04: D100007B 00A2F742
	v_cmp_le_u32_e64 s[40:41], v240, v64                       // 000000022B0C: D0CB0028 000281F0
	v_add_u32_e32 v240, 64, v240                               // 000000022B14: 69E1E0C0
	s_nop 0                                                    // 000000022B18: BF800000
	v_cndmask_b32_e64 v124, v66, v124, s[40:41]                // 000000022B1C: D100007C 00A2F942
	v_cmp_le_u32_e64 s[40:41], v241, v64                       // 000000022B24: D0CB0028 000281F1
	v_add_u32_e32 v241, 64, v241                               // 000000022B2C: 69E3E2C0
	s_nop 0                                                    // 000000022B30: BF800000
	v_cndmask_b32_e64 v125, v66, v125, s[40:41]                // 000000022B34: D100007D 00A2FB42
	v_cmp_le_u32_e64 s[40:41], v242, v64                       // 000000022B3C: D0CB0028 000281F2
	v_add_u32_e32 v242, 64, v242                               // 000000022B44: 69E5E4C0
	s_nop 0                                                    // 000000022B48: BF800000
	v_cndmask_b32_e64 v126, v66, v126, s[40:41]                // 000000022B4C: D100007E 00A2FD42
	v_cmp_le_u32_e64 s[40:41], v243, v64                       // 000000022B54: D0CB0028 000281F3
	v_add_u32_e32 v243, 64, v243                               // 000000022B5C: 69E7E6C0
	s_nop 0                                                    // 000000022B60: BF800000
	v_cndmask_b32_e64 v127, v66, v127, s[40:41]                // 000000022B64: D100007F 00A2FF42

0000000000022b6c <label_825B>:
	v_mov_b32_e32 v48, v112                                    // 000000022B6C: 7E600370
	v_max3_f32 v48, v112, v113, v48                            // 000000022B70: D1D30030 04C2E370
	v_max3_f32 v48, v114, v115, v48                            // 000000022B78: D1D30030 04C2E772
	v_max3_f32 v48, v116, v117, v48                            // 000000022B80: D1D30030 04C2EB74
	v_max3_f32 v48, v118, v119, v48                            // 000000022B88: D1D30030 04C2EF76
	v_max3_f32 v48, v120, v121, v48                            // 000000022B90: D1D30030 04C2F378
	v_max3_f32 v48, v122, v123, v48                            // 000000022B98: D1D30030 04C2F77A
	v_max3_f32 v48, v124, v125, v48                            // 000000022BA0: D1D30030 04C2FB7C
	v_max3_f32 v48, v126, v127, v48                            // 000000022BA8: D1D30030 04C2FF7E
	ds_write_b32 v8, v48 offset:16896                          // 000000022BB0: D81A4200 00003008
	buffer_load_dwordx4 a[24:27], v25, s[16:19], 0 offen       // 000000022BB8: E05C1000 80841819
	v_mul_u32_u24_dpp v64, v16, v54 row_newbcast:1 row_mask:0xf bank_mask:0xf// 000000022BC0: 10806CFA FF015110
	v_mul_u32_u24_dpp v65, v16, v54 row_newbcast:5 row_mask:0xf bank_mask:0xf// 000000022BC8: 10826CFA FF015510
	v_mul_u32_u24_dpp v66, v16, v54 row_newbcast:9 row_mask:0xf bank_mask:0xf// 000000022BD0: 10846CFA FF015910
	v_mul_u32_u24_dpp v67, v16, v54 row_newbcast:13 row_mask:0xf bank_mask:0xf// 000000022BD8: 10866CFA FF015D10
	v_add_u32_e32 v30, v64, v6                                 // 000000022BE0: 683C0D40
	v_add_u32_e32 v31, v65, v6                                 // 000000022BE4: 683E0D41
	v_add_u32_e32 v32, v66, v6                                 // 000000022BE8: 68400D42
	v_add_u32_e32 v33, v67, v6                                 // 000000022BEC: 68420D43
	v_mul_f32_e32 v208, v49, v208                              // 000000022BF0: 0BA1A131
	v_mul_f32_e32 v209, v49, v209                              // 000000022BF4: 0BA3A331
	v_mul_f32_e32 v210, v49, v210                              // 000000022BF8: 0BA5A531
	v_mul_f32_e32 v211, v49, v211                              // 000000022BFC: 0BA7A731
	v_mul_f32_e32 v212, v49, v212                              // 000000022C00: 0BA9A931
	v_mul_f32_e32 v213, v49, v213                              // 000000022C04: 0BABAB31
	v_mul_f32_e32 v214, v49, v214                              // 000000022C08: 0BADAD31
	v_mul_f32_e32 v215, v49, v215                              // 000000022C0C: 0BAFAF31
	s_waitcnt lgkmcnt(0)                                       // 000000022C10: BF8CC07F
	s_barrier                                                  // 000000022C14: BF8A0000
	ds_read_b32 v64, v7 offset:16896                           // 000000022C18: D86C4200 40000007
	ds_read_b32 v65, v7 offset:16960                           // 000000022C20: D86C4240 41000007
	ds_read_b32 v66, v7 offset:17024                           // 000000022C28: D86C4280 42000007
	ds_read_b32 v67, v7 offset:17088                           // 000000022C30: D86C42C0 43000007
	ds_read_b32 v68, v7 offset:17152                           // 000000022C38: D86C4300 44000007
	ds_read_b32 v69, v7 offset:17216                           // 000000022C40: D86C4340 45000007
	ds_read_b32 v70, v7 offset:17280                           // 000000022C48: D86C4380 46000007
	ds_read_b32 v71, v7 offset:17344                           // 000000022C50: D86C43C0 47000007
	ds_read_b32 v72, v7 offset:17408                           // 000000022C58: D86C4400 48000007
	ds_read_b32 v73, v7 offset:17472                           // 000000022C60: D86C4440 49000007
	ds_read_b32 v74, v7 offset:17536                           // 000000022C68: D86C4480 4A000007
	ds_read_b32 v75, v7 offset:17600                           // 000000022C70: D86C44C0 4B000007
	ds_read_b32 v76, v7 offset:17664                           // 000000022C78: D86C4500 4C000007
	ds_read_b32 v77, v7 offset:17728                           // 000000022C80: D86C4540 4D000007
	ds_read_b32 v78, v7 offset:17792                           // 000000022C88: D86C4580 4E000007
	ds_read_b32 v79, v7 offset:17856                           // 000000022C90: D86C45C0 4F000007
	buffer_load_dwordx4 a[28:31], v25, s[16:19], 0 offen offset:1024// 000000022C98: E05C1400 80841C19
	v_cvt_f32_i32_e32 v176, v176                               // 000000022CA0: 7F600BB0
	v_cvt_f32_i32_e32 v177, v177                               // 000000022CA4: 7F620BB1
	v_cvt_f32_i32_e32 v178, v178                               // 000000022CA8: 7F640BB2
	v_cvt_f32_i32_e32 v179, v179                               // 000000022CAC: 7F660BB3
	v_cvt_f32_i32_e32 v180, v180                               // 000000022CB0: 7F680BB4
	v_cvt_f32_i32_e32 v181, v181                               // 000000022CB4: 7F6A0BB5
	v_cvt_f32_i32_e32 v182, v182                               // 000000022CB8: 7F6C0BB6
	v_cvt_f32_i32_e32 v183, v183                               // 000000022CBC: 7F6E0BB7
	v_mul_f32_e32 v176, v44, v176                              // 000000022CC0: 0B61612C
	v_mul_f32_e32 v177, v44, v177                              // 000000022CC4: 0B63632C
	v_mul_f32_e32 v178, v44, v178                              // 000000022CC8: 0B65652C
	v_mul_f32_e32 v179, v44, v179                              // 000000022CCC: 0B67672C
	v_mul_f32_e32 v180, v44, v180                              // 000000022CD0: 0B69692C
	v_mul_f32_e32 v181, v44, v181                              // 000000022CD4: 0B6B6B2C
	v_mul_f32_e32 v182, v44, v182                              // 000000022CD8: 0B6D6D2C
	v_mul_f32_e32 v183, v44, v183                              // 000000022CDC: 0B6F6F2C
	s_waitcnt lgkmcnt(0)                                       // 000000022CE0: BF8CC07F
	v_max3_f32 v48, v64, v65, v48                              // 000000022CE4: D1D30030 04C28340
	v_max3_f32 v48, v66, v67, v48                              // 000000022CEC: D1D30030 04C28742
	v_max3_f32 v48, v68, v69, v48                              // 000000022CF4: D1D30030 04C28B44
	v_max3_f32 v48, v70, v71, v48                              // 000000022CFC: D1D30030 04C28F46
	v_max3_f32 v48, v72, v73, v48                              // 000000022D04: D1D30030 04C29348
	v_max3_f32 v48, v74, v75, v48                              // 000000022D0C: D1D30030 04C2974A
	v_max3_f32 v48, v76, v77, v48                              // 000000022D14: D1D30030 04C29B4C
	v_max3_f32 v48, v78, v79, v48                              // 000000022D1C: D1D30030 04C29F4E
	buffer_load_dwordx4 a[64:67], v30, s[20:23], 0 offen       // 000000022D24: E05C1000 8085401E
	v_mov_b32_e32 v64, 0xff800000                              // 000000022D2C: 7E8002FF FF800000
	v_cmp_eq_u32_e64 s[40:41], v64, v11                        // 000000022D34: D0CA0028 00021740
	s_nop 1                                                    // 000000022D3C: BF800001
	v_max_f32_e32 v15, v48, v11                                // 000000022D40: 161E1730
	v_mul_f32_e32 v53, s64, v15                                // 000000022D44: 0A6A1E40
	v_fma_f32 v112, v112, s64, -v53                            // 000000022D48: D1CB0070 84D48170
	v_fma_f32 v113, v113, s64, -v53                            // 000000022D50: D1CB0071 84D48171
	v_fma_f32 v114, v114, s64, -v53                            // 000000022D58: D1CB0072 84D48172
	v_fma_f32 v115, v115, s64, -v53                            // 000000022D60: D1CB0073 84D48173
	v_fma_f32 v116, v116, s64, -v53                            // 000000022D68: D1CB0074 84D48174
	v_fma_f32 v117, v117, s64, -v53                            // 000000022D70: D1CB0075 84D48175
	v_fma_f32 v118, v118, s64, -v53                            // 000000022D78: D1CB0076 84D48176
	v_fma_f32 v119, v119, s64, -v53                            // 000000022D80: D1CB0077 84D48177
	v_fma_f32 v120, v120, s64, -v53                            // 000000022D88: D1CB0078 84D48178
	v_fma_f32 v121, v121, s64, -v53                            // 000000022D90: D1CB0079 84D48179
	v_fma_f32 v122, v122, s64, -v53                            // 000000022D98: D1CB007A 84D4817A
	v_fma_f32 v123, v123, s64, -v53                            // 000000022DA0: D1CB007B 84D4817B
	v_fma_f32 v124, v124, s64, -v53                            // 000000022DA8: D1CB007C 84D4817C
	v_fma_f32 v125, v125, s64, -v53                            // 000000022DB0: D1CB007D 84D4817D
	v_fma_f32 v126, v126, s64, -v53                            // 000000022DB8: D1CB007E 84D4817E
	v_fma_f32 v127, v127, s64, -v53                            // 000000022DC0: D1CB007F 84D4817F
	buffer_load_dwordx4 a[68:71], v31, s[20:23], 0 offen       // 000000022DC8: E05C1000 8085441F
	v_exp_f32_e32 v112, v112                                   // 000000022DD0: 7EE04170
	v_exp_f32_e32 v113, v113                                   // 000000022DD4: 7EE24171
	v_exp_f32_e32 v114, v114                                   // 000000022DD8: 7EE44172
	v_exp_f32_e32 v115, v115                                   // 000000022DDC: 7EE64173
	v_exp_f32_e32 v116, v116                                   // 000000022DE0: 7EE84174
	v_exp_f32_e32 v117, v117                                   // 000000022DE4: 7EEA4175
	v_exp_f32_e32 v118, v118                                   // 000000022DE8: 7EEC4176
	v_exp_f32_e32 v119, v119                                   // 000000022DEC: 7EEE4177
	v_exp_f32_e32 v120, v120                                   // 000000022DF0: 7EF04178
	v_exp_f32_e32 v121, v121                                   // 000000022DF4: 7EF24179
	v_exp_f32_e32 v122, v122                                   // 000000022DF8: 7EF4417A
	v_exp_f32_e32 v123, v123                                   // 000000022DFC: 7EF6417B
	v_exp_f32_e32 v124, v124                                   // 000000022E00: 7EF8417C
	v_exp_f32_e32 v125, v125                                   // 000000022E04: 7EFA417D
	v_exp_f32_e32 v126, v126                                   // 000000022E08: 7EFC417E
	v_exp_f32_e32 v127, v127                                   // 000000022E0C: 7EFE417F
	buffer_load_dwordx4 a[72:75], v32, s[20:23], 0 offen       // 000000022E10: E05C1000 80854820
	v_mul_f32_dpp v240, v252, v112 quad_perm:[0,0,0,0] row_mask:0xf bank_mask:0xf// 000000022E18: 0BE0E0FA FF0000FC
	v_mul_f32_dpp v241, v252, v113 quad_perm:[1,1,1,1] row_mask:0xf bank_mask:0xf// 000000022E20: 0BE2E2FA FF0055FC
	v_mul_f32_dpp v242, v252, v114 quad_perm:[2,2,2,2] row_mask:0xf bank_mask:0xf// 000000022E28: 0BE4E4FA FF00AAFC
	v_mul_f32_dpp v243, v252, v115 quad_perm:[3,3,3,3] row_mask:0xf bank_mask:0xf// 000000022E30: 0BE6E6FA FF00FFFC
	v_mul_f32_dpp v244, v253, v116 quad_perm:[0,0,0,0] row_mask:0xf bank_mask:0xf// 000000022E38: 0BE8E8FA FF0000FD
	v_mul_f32_dpp v245, v253, v117 quad_perm:[1,1,1,1] row_mask:0xf bank_mask:0xf// 000000022E40: 0BEAEAFA FF0055FD
	v_mul_f32_dpp v246, v253, v118 quad_perm:[2,2,2,2] row_mask:0xf bank_mask:0xf// 000000022E48: 0BECECFA FF00AAFD
	v_mul_f32_dpp v247, v253, v119 quad_perm:[3,3,3,3] row_mask:0xf bank_mask:0xf// 000000022E50: 0BEEEEFA FF00FFFD
	v_mul_f32_dpp v248, v254, v120 quad_perm:[0,0,0,0] row_mask:0xf bank_mask:0xf// 000000022E58: 0BF0F0FA FF0000FE
	v_mul_f32_dpp v249, v254, v121 quad_perm:[1,1,1,1] row_mask:0xf bank_mask:0xf// 000000022E60: 0BF2F2FA FF0055FE
	v_mul_f32_dpp v250, v254, v122 quad_perm:[2,2,2,2] row_mask:0xf bank_mask:0xf// 000000022E68: 0BF4F4FA FF00AAFE
	v_mul_f32_dpp v251, v254, v123 quad_perm:[3,3,3,3] row_mask:0xf bank_mask:0xf// 000000022E70: 0BF6F6FA FF00FFFE
	v_mul_f32_dpp v252, v255, v124 quad_perm:[0,0,0,0] row_mask:0xf bank_mask:0xf// 000000022E78: 0BF8F8FA FF0000FF
	v_mul_f32_dpp v253, v255, v125 quad_perm:[1,1,1,1] row_mask:0xf bank_mask:0xf// 000000022E80: 0BFAFAFA FF0055FF
	v_mul_f32_dpp v254, v255, v126 quad_perm:[2,2,2,2] row_mask:0xf bank_mask:0xf// 000000022E88: 0BFCFCFA FF00AAFF
	v_mul_f32_dpp v255, v255, v127 quad_perm:[3,3,3,3] row_mask:0xf bank_mask:0xf// 000000022E90: 0BFEFEFA FF00FFFF
	v_mov_b32_e32 v48, 0x358637bd                              // 000000022E98: 7E6002FF 358637BD
	v_max3_f32 v48, |v240|, |v241|, v48                        // 000000022EA0: D1D30330 04C3E3F0
	v_max3_f32 v48, |v242|, |v243|, v48                        // 000000022EA8: D1D30330 04C3E7F2
	v_max3_f32 v48, |v244|, |v245|, v48                        // 000000022EB0: D1D30330 04C3EBF4
	v_max3_f32 v48, |v246|, |v247|, v48                        // 000000022EB8: D1D30330 04C3EFF6
	v_max3_f32 v48, |v248|, |v249|, v48                        // 000000022EC0: D1D30330 04C3F3F8
	v_max3_f32 v48, |v250|, |v251|, v48                        // 000000022EC8: D1D30330 04C3F7FA
	v_max3_f32 v48, |v252|, |v253|, v48                        // 000000022ED0: D1D30330 04C3FBFC
	v_max3_f32 v48, |v254|, |v255|, v48                        // 000000022ED8: D1D30330 04C3FFFE
	buffer_load_dwordx4 a[76:79], v33, s[20:23], 0 offen       // 000000022EE0: E05C1000 80854C21
	ds_write_b32 v8, v48 offset:20992                          // 000000022EE8: D81A5200 00003008
	v_sub_f32_e32 v49, v11, v15                                // 000000022EF0: 04621F0B
	v_cndmask_b32_e64 v49, v49, 0, s[40:41]                    // 000000022EF4: D1000031 00A10131
	v_mov_b32_e32 v11, v15                                     // 000000022EFC: 7E16030F
	v_mul_f32_e32 v49, s64, v49                                // 000000022F00: 0A626240
	v_exp_f32_e32 v49, v49                                     // 000000022F04: 7E624131
	s_waitcnt lgkmcnt(0)                                       // 000000022F08: BF8CC07F
	s_barrier                                                  // 000000022F0C: BF8A0000
	ds_read_b32 v64, v7 offset:20992                           // 000000022F10: D86C5200 40000007
	ds_read_b32 v65, v7 offset:21056                           // 000000022F18: D86C5240 41000007
	ds_read_b32 v66, v7 offset:21120                           // 000000022F20: D86C5280 42000007
	ds_read_b32 v67, v7 offset:21184                           // 000000022F28: D86C52C0 43000007
	ds_read_b32 v68, v7 offset:21248                           // 000000022F30: D86C5300 44000007
	ds_read_b32 v69, v7 offset:21312                           // 000000022F38: D86C5340 45000007
	ds_read_b32 v70, v7 offset:21376                           // 000000022F40: D86C5380 46000007
	ds_read_b32 v71, v7 offset:21440                           // 000000022F48: D86C53C0 47000007
	ds_read_b32 v72, v7 offset:21504                           // 000000022F50: D86C5400 48000007
	ds_read_b32 v73, v7 offset:21568                           // 000000022F58: D86C5440 49000007
	ds_read_b32 v74, v7 offset:21632                           // 000000022F60: D86C5480 4A000007
	ds_read_b32 v75, v7 offset:21696                           // 000000022F68: D86C54C0 4B000007
	ds_read_b32 v76, v7 offset:21760                           // 000000022F70: D86C5500 4C000007
	ds_read_b32 v77, v7 offset:21824                           // 000000022F78: D86C5540 4D000007
	ds_read_b32 v78, v7 offset:21888                           // 000000022F80: D86C5580 4E000007
	ds_read_b32 v79, v7 offset:21952                           // 000000022F88: D86C55C0 4F000007
	v_mul_f32_e32 v38, v49, v38                                // 000000022F90: 0A4C4D31
	v_mov_b32_e32 v15, v112                                    // 000000022F94: 7E1E0370
	v_add_f32_e32 v15, v113, v15                               // 000000022F98: 021E1F71
	v_add_f32_e32 v15, v114, v15                               // 000000022F9C: 021E1F72
	v_add_f32_e32 v15, v115, v15                               // 000000022FA0: 021E1F73
	v_add_f32_e32 v15, v116, v15                               // 000000022FA4: 021E1F74
	v_add_f32_e32 v15, v117, v15                               // 000000022FA8: 021E1F75
	v_add_f32_e32 v15, v118, v15                               // 000000022FAC: 021E1F76
	v_add_f32_e32 v15, v119, v15                               // 000000022FB0: 021E1F77
	v_add_f32_e32 v15, v120, v15                               // 000000022FB4: 021E1F78
	v_add_f32_e32 v15, v121, v15                               // 000000022FB8: 021E1F79
	v_add_f32_e32 v15, v122, v15                               // 000000022FBC: 021E1F7A
	v_add_f32_e32 v15, v123, v15                               // 000000022FC0: 021E1F7B
	v_add_f32_e32 v15, v124, v15                               // 000000022FC4: 021E1F7C
	v_add_f32_e32 v15, v125, v15                               // 000000022FC8: 021E1F7D
	v_add_f32_e32 v15, v126, v15                               // 000000022FCC: 021E1F7E
	v_add_f32_e32 v15, v127, v15                               // 000000022FD0: 021E1F7F
	v_add_f32_e32 v38, v15, v38                                // 000000022FD4: 024C4D0F
	s_waitcnt lgkmcnt(0)                                       // 000000022FD8: BF8CC07F
	v_max3_f32 v48, |v64|, |v65|, v48                          // 000000022FDC: D1D30330 04C28340
	v_max3_f32 v48, |v66|, |v67|, v48                          // 000000022FE4: D1D30330 04C28742
	v_max3_f32 v48, |v68|, |v69|, v48                          // 000000022FEC: D1D30330 04C28B44
	v_max3_f32 v48, |v70|, |v71|, v48                          // 000000022FF4: D1D30330 04C28F46
	v_max3_f32 v48, |v72|, |v73|, v48                          // 000000022FFC: D1D30330 04C29348
	v_max3_f32 v48, |v74|, |v75|, v48                          // 000000023004: D1D30330 04C2974A
	v_max3_f32 v48, |v76|, |v77|, v48                          // 00000002300C: D1D30330 04C29B4C
	v_max3_f32 v48, |v78|, |v79|, v48                          // 000000023014: D1D30330 04C29F4E
	s_nop 2                                                    // 00000002301C: BF800002
	v_rcp_f32_e32 v48, v48                                     // 000000023020: 7E604530
	s_nop 1                                                    // 000000023024: BF800001
	v_mul_f32_e32 v48, 0x42fe0000, v48                         // 000000023028: 0A6060FF 42FE0000
	v_mul_f32_e32 v112, v48, v240                              // 000000023030: 0AE1E130
	v_mul_f32_e32 v113, v48, v241                              // 000000023034: 0AE3E330
	v_mul_f32_e32 v114, v48, v242                              // 000000023038: 0AE5E530
	v_mul_f32_e32 v115, v48, v243                              // 00000002303C: 0AE7E730
	v_mul_f32_e32 v116, v48, v244                              // 000000023040: 0AE9E930
	v_mul_f32_e32 v117, v48, v245                              // 000000023044: 0AEBEB30
	v_mul_f32_e32 v118, v48, v246                              // 000000023048: 0AEDED30
	v_mul_f32_e32 v119, v48, v247                              // 00000002304C: 0AEFEF30
	v_mul_f32_e32 v120, v48, v248                              // 000000023050: 0AF1F130
	v_mul_f32_e32 v121, v48, v249                              // 000000023054: 0AF3F330
	v_mul_f32_e32 v122, v48, v250                              // 000000023058: 0AF5F530
	v_mul_f32_e32 v123, v48, v251                              // 00000002305C: 0AF7F730
	v_mul_f32_e32 v124, v48, v252                              // 000000023060: 0AF9F930
	v_mul_f32_e32 v125, v48, v253                              // 000000023064: 0AFBFB30
	v_mul_f32_e32 v126, v48, v254                              // 000000023068: 0AFDFD30
	v_mul_f32_e32 v127, v48, v255                              // 00000002306C: 0AFFFF30
	v_cvt_i32_f32_e32 v112, v112                               // 000000023070: 7EE01170
	v_cvt_i32_f32_e32 v113, v113                               // 000000023074: 7EE21171
	v_cvt_i32_f32_e32 v114, v114                               // 000000023078: 7EE41172
	v_cvt_i32_f32_e32 v115, v115                               // 00000002307C: 7EE61173
	v_cvt_i32_f32_e32 v116, v116                               // 000000023080: 7EE81174
	v_cvt_i32_f32_e32 v117, v117                               // 000000023084: 7EEA1175
	v_cvt_i32_f32_e32 v118, v118                               // 000000023088: 7EEC1176
	v_cvt_i32_f32_e32 v119, v119                               // 00000002308C: 7EEE1177
	v_cvt_i32_f32_e32 v120, v120                               // 000000023090: 7EF01178
	v_cvt_i32_f32_e32 v121, v121                               // 000000023094: 7EF21179
	v_cvt_i32_f32_e32 v122, v122                               // 000000023098: 7EF4117A
	v_cvt_i32_f32_e32 v123, v123                               // 00000002309C: 7EF6117B
	v_cvt_i32_f32_e32 v124, v124                               // 0000000230A0: 7EF8117C
	v_cvt_i32_f32_e32 v125, v125                               // 0000000230A4: 7EFA117D
	v_cvt_i32_f32_e32 v126, v126                               // 0000000230A8: 7EFC117E
	v_cvt_i32_f32_e32 v127, v127                               // 0000000230AC: 7EFE117F
	v_perm_b32 v112, v113, v112, s53                           // 0000000230B0: D1ED0070 00D6E171
	v_perm_b32 v112, v114, v112, s54                           // 0000000230B8: D1ED0070 00DAE172
	v_perm_b32 v112, v115, v112, s55                           // 0000000230C0: D1ED0070 00DEE173
	v_perm_b32 v113, v117, v116, s53                           // 0000000230C8: D1ED0071 00D6E975
	v_perm_b32 v113, v118, v113, s54                           // 0000000230D0: D1ED0071 00DAE376
	v_perm_b32 v113, v119, v113, s55                           // 0000000230D8: D1ED0071 00DEE377
	v_perm_b32 v114, v121, v120, s53                           // 0000000230E0: D1ED0072 00D6F179
	v_perm_b32 v114, v122, v114, s54                           // 0000000230E8: D1ED0072 00DAE57A
	v_perm_b32 v114, v123, v114, s55                           // 0000000230F0: D1ED0072 00DEE57B
	v_perm_b32 v115, v125, v124, s53                           // 0000000230F8: D1ED0073 00D6F97D
	v_perm_b32 v115, v126, v115, s54                           // 000000023100: D1ED0073 00DAE77E
	v_perm_b32 v115, v127, v115, s55                           // 000000023108: D1ED0073 00DEE77F
	ds_write_b32 v10, v112 offset:25088                        // 000000023110: D81A6200 0000700A
	ds_write_b32 v10, v113 offset:26112                        // 000000023118: D81A6600 0000710A
	ds_write_b32 v10, v114 offset:27136                        // 000000023120: D81A6A00 0000720A
	ds_write_b32 v10, v115 offset:28160                        // 000000023128: D81A6E00 0000730A
	v_add_f32_e32 v208, v208, v176                             // 000000023130: 03A161D0
	v_add_f32_e32 v209, v209, v177                             // 000000023134: 03A363D1
	v_add_f32_e32 v210, v210, v178                             // 000000023138: 03A565D2
	v_add_f32_e32 v211, v211, v179                             // 00000002313C: 03A767D3
	v_add_f32_e32 v212, v212, v180                             // 000000023140: 03A969D4
	v_add_f32_e32 v213, v213, v181                             // 000000023144: 03AB6BD5
	v_add_f32_e32 v214, v214, v182                             // 000000023148: 03AD6DD6
	v_add_f32_e32 v215, v215, v183                             // 00000002314C: 03AF6FD7
	v_rcp_f32_e32 v44, v48                                     // 000000023150: 7E584530
	s_waitcnt lgkmcnt(0)                                       // 000000023154: BF8CC07F
	s_barrier                                                  // 000000023158: BF8A0000
	ds_read_b64 v[112:113], v9 offset:25088                    // 00000002315C: D8EC6200 70000009
	ds_read_b64 v[114:115], v9 offset:25216                    // 000000023164: D8EC6280 72000009
	ds_read_b64 v[116:117], v9 offset:26112                    // 00000002316C: D8EC6600 74000009
	ds_read_b64 v[118:119], v9 offset:26240                    // 000000023174: D8EC6680 76000009
	ds_read_b64 v[120:121], v9 offset:27136                    // 00000002317C: D8EC6A00 78000009
	ds_read_b64 v[122:123], v9 offset:27264                    // 000000023184: D8EC6A80 7A000009
	ds_read_b64 v[124:125], v9 offset:28160                    // 00000002318C: D8EC6E00 7C000009
	ds_read_b64 v[126:127], v9 offset:28288                    // 000000023194: D8EC6E80 7E000009
	v_mov_b32_dpp v64, v43 row_shr:4 row_mask:0xf bank_mask:0xf// 00000002319C: 7E8002FA FF01142B
	v_mov_b32_dpp v65, v43 row_shl:4 row_mask:0xf bank_mask:0xf// 0000000231A4: 7E8202FA FF01042B
	v_cndmask_b32_e64 v248, v43, v64, s[44:45]                 // 0000000231AC: D10000F8 00B2812B
	v_cndmask_b32_e64 v249, v65, v43, s[44:45]                 // 0000000231B4: D10000F9 00B25741
	v_mov_b32_dpp v64, v248 row_shr:8 row_mask:0xf bank_mask:0xf// 0000000231BC: 7E8002FA FF0118F8
	v_mov_b32_dpp v65, v248 row_shl:8 row_mask:0xf bank_mask:0xf// 0000000231C4: 7E8202FA FF0108F8
	v_mov_b32_dpp v66, v249 row_shr:8 row_mask:0xf bank_mask:0xf// 0000000231CC: 7E8402FA FF0118F9
	v_mov_b32_dpp v67, v249 row_shl:8 row_mask:0xf bank_mask:0xf// 0000000231D4: 7E8602FA FF0108F9
	v_mov_b32_e32 v68, v248                                    // 0000000231DC: 7E8803F8
	v_mov_b32_e32 v69, v249                                    // 0000000231E0: 7E8A03F9
	v_cndmask_b32_e64 v248, v68, v64, s[42:43]                 // 0000000231E4: D10000F8 00AA8144
	v_cndmask_b32_e64 v250, v68, v65, s[78:79]                 // 0000000231EC: D10000FA 013A8344
	v_cndmask_b32_e64 v249, v69, v66, s[42:43]                 // 0000000231F4: D10000F9 00AA8545
	v_cndmask_b32_e64 v251, v69, v67, s[78:79]                 // 0000000231FC: D10000FB 013A8745
	v_mov_b32_dpp v64, v58 row_shr:4 row_mask:0xf bank_mask:0xf// 000000023204: 7E8002FA FF01143A
	v_mov_b32_dpp v65, v58 row_shl:4 row_mask:0xf bank_mask:0xf// 00000002320C: 7E8202FA FF01043A
	v_cndmask_b32_e64 v252, v58, v64, s[44:45]                 // 000000023214: D10000FC 00B2813A
	v_cndmask_b32_e64 v253, v65, v58, s[44:45]                 // 00000002321C: D10000FD 00B27541
	v_mov_b32_dpp v64, v252 row_shr:8 row_mask:0xf bank_mask:0xf// 000000023224: 7E8002FA FF0118FC
	v_mov_b32_dpp v65, v252 row_shl:8 row_mask:0xf bank_mask:0xf// 00000002322C: 7E8202FA FF0108FC
	v_mov_b32_dpp v66, v253 row_shr:8 row_mask:0xf bank_mask:0xf// 000000023234: 7E8402FA FF0118FD
	v_mov_b32_dpp v67, v253 row_shl:8 row_mask:0xf bank_mask:0xf// 00000002323C: 7E8602FA FF0108FD
	v_mov_b32_e32 v68, v252                                    // 000000023244: 7E8803FC
	v_mov_b32_e32 v69, v253                                    // 000000023248: 7E8A03FD
	v_cndmask_b32_e64 v252, v68, v64, s[42:43]                 // 00000002324C: D10000FC 00AA8144
	v_cndmask_b32_e64 v254, v68, v65, s[78:79]                 // 000000023254: D10000FE 013A8344
	v_cndmask_b32_e64 v253, v69, v66, s[42:43]                 // 00000002325C: D10000FD 00AA8545
	v_cndmask_b32_e64 v255, v69, v67, s[78:79]                 // 000000023264: D10000FF 013A8745
	v_cvt_f32_i32_e32 v128, v128                               // 00000002326C: 7F000B80
	v_cvt_f32_i32_e32 v129, v129                               // 000000023270: 7F020B81
	v_cvt_f32_i32_e32 v130, v130                               // 000000023274: 7F040B82
	v_cvt_f32_i32_e32 v131, v131                               // 000000023278: 7F060B83
	v_cvt_f32_i32_e32 v132, v132                               // 00000002327C: 7F080B84
	v_cvt_f32_i32_e32 v133, v133                               // 000000023280: 7F0A0B85
	v_cvt_f32_i32_e32 v134, v134                               // 000000023284: 7F0C0B86
	v_cvt_f32_i32_e32 v135, v135                               // 000000023288: 7F0E0B87
	v_cvt_f32_i32_e32 v136, v136                               // 00000002328C: 7F100B88
	v_cvt_f32_i32_e32 v137, v137                               // 000000023290: 7F120B89
	v_cvt_f32_i32_e32 v138, v138                               // 000000023294: 7F140B8A
	v_cvt_f32_i32_e32 v139, v139                               // 000000023298: 7F160B8B
	v_cvt_f32_i32_e32 v140, v140                               // 00000002329C: 7F180B8C
	v_cvt_f32_i32_e32 v141, v141                               // 0000000232A0: 7F1A0B8D
	v_cvt_f32_i32_e32 v142, v142                               // 0000000232A4: 7F1C0B8E
	v_cvt_f32_i32_e32 v143, v143                               // 0000000232A8: 7F1E0B8F
	v_mul_f32_e32 v128, v19, v128                              // 0000000232AC: 0B010113
	v_mul_f32_e32 v129, v19, v129                              // 0000000232B0: 0B030313
	v_mul_f32_e32 v130, v19, v130                              // 0000000232B4: 0B050513
	v_mul_f32_e32 v131, v19, v131                              // 0000000232B8: 0B070713
	v_mul_f32_e32 v132, v19, v132                              // 0000000232BC: 0B090913
	v_mul_f32_e32 v133, v19, v133                              // 0000000232C0: 0B0B0B13
	v_mul_f32_e32 v134, v19, v134                              // 0000000232C4: 0B0D0D13
	v_mul_f32_e32 v135, v19, v135                              // 0000000232C8: 0B0F0F13
	v_mul_f32_e32 v136, v19, v136                              // 0000000232CC: 0B111113
	v_mul_f32_e32 v137, v19, v137                              // 0000000232D0: 0B131313
	v_mul_f32_e32 v138, v19, v138                              // 0000000232D4: 0B151513
	v_mul_f32_e32 v139, v19, v139                              // 0000000232D8: 0B171713
	v_mul_f32_e32 v140, v19, v140                              // 0000000232DC: 0B191913
	v_mul_f32_e32 v141, v19, v141                              // 0000000232E0: 0B1B1B13
	v_mul_f32_e32 v142, v19, v142                              // 0000000232E4: 0B1D1D13
	v_mul_f32_e32 v143, v19, v143                              // 0000000232E8: 0B1F1F13
	v_mul_f32_dpp v128, v248, v128 quad_perm:[0,0,0,0] row_mask:0xf bank_mask:0xf// 0000000232EC: 0B0100FA FF0000F8
	v_mul_f32_dpp v129, v248, v129 quad_perm:[1,1,1,1] row_mask:0xf bank_mask:0xf// 0000000232F4: 0B0302FA FF0055F8
	v_mul_f32_dpp v130, v248, v130 quad_perm:[2,2,2,2] row_mask:0xf bank_mask:0xf// 0000000232FC: 0B0504FA FF00AAF8
	v_mul_f32_dpp v131, v248, v131 quad_perm:[3,3,3,3] row_mask:0xf bank_mask:0xf// 000000023304: 0B0706FA FF00FFF8
	v_mul_f32_dpp v132, v249, v132 quad_perm:[0,0,0,0] row_mask:0xf bank_mask:0xf// 00000002330C: 0B0908FA FF0000F9
	v_mul_f32_dpp v133, v249, v133 quad_perm:[1,1,1,1] row_mask:0xf bank_mask:0xf// 000000023314: 0B0B0AFA FF0055F9
	v_mul_f32_dpp v134, v249, v134 quad_perm:[2,2,2,2] row_mask:0xf bank_mask:0xf// 00000002331C: 0B0D0CFA FF00AAF9
	v_mul_f32_dpp v135, v249, v135 quad_perm:[3,3,3,3] row_mask:0xf bank_mask:0xf// 000000023324: 0B0F0EFA FF00FFF9
	v_mul_f32_dpp v136, v250, v136 quad_perm:[0,0,0,0] row_mask:0xf bank_mask:0xf// 00000002332C: 0B1110FA FF0000FA
	v_mul_f32_dpp v137, v250, v137 quad_perm:[1,1,1,1] row_mask:0xf bank_mask:0xf// 000000023334: 0B1312FA FF0055FA
	v_mul_f32_dpp v138, v250, v138 quad_perm:[2,2,2,2] row_mask:0xf bank_mask:0xf// 00000002333C: 0B1514FA FF00AAFA
	v_mul_f32_dpp v139, v250, v139 quad_perm:[3,3,3,3] row_mask:0xf bank_mask:0xf// 000000023344: 0B1716FA FF00FFFA
	v_mul_f32_dpp v140, v251, v140 quad_perm:[0,0,0,0] row_mask:0xf bank_mask:0xf// 00000002334C: 0B1918FA FF0000FB
	v_mul_f32_dpp v141, v251, v141 quad_perm:[1,1,1,1] row_mask:0xf bank_mask:0xf// 000000023354: 0B1B1AFA FF0055FB
	v_mul_f32_dpp v142, v251, v142 quad_perm:[2,2,2,2] row_mask:0xf bank_mask:0xf// 00000002335C: 0B1D1CFA FF00AAFB
	v_mul_f32_dpp v143, v251, v143 quad_perm:[3,3,3,3] row_mask:0xf bank_mask:0xf// 000000023364: 0B1F1EFA FF00FFFB
	s_cmp_le_i32 s90, s89                                      // 00000002336C: BF05595A
	s_cbranch_scc1 label_84CE                                  // 000000023370: BF850071
	v_mov_b32_e32 v66, 0xff800000                              // 000000023374: 7E8402FF FF800000
	s_mov_b32 s60, s90                                         // 00000002337C: BEBC005A
	s_add_u32 s61, s89, 0xff                                   // 000000023380: 803DFF59 000000FF
	v_mov_b32_e32 v64, s61                                     // 000000023388: 7E80023D
	v_lshrrev_b32_e32 v240, 4, v0                              // 00000002338C: 21E00084
	v_mul_i32_i24_e32 v240, 4, v240                            // 000000023390: 0DE1E084
	v_add_u32_e32 v240, s60, v240                              // 000000023394: 69E1E03C
	s_mov_b32 s61, 1                                           // 000000023398: BEBD0081
	s_mul_i32 s60, 16, s7                                      // 00000002339C: 923C0790
	v_sub_u32_e64 v240, v240, s61                              // 0000000233A0: D13500F0 00007BF0
	v_add_u32_e32 v240, s60, v240                              // 0000000233A8: 69E1E03C
	v_add_u32_e32 v241, 1, v240                                // 0000000233AC: 69E3E081
	v_add_u32_e32 v242, 2, v240                                // 0000000233B0: 69E5E082
	v_add_u32_e32 v243, 3, v240                                // 0000000233B4: 69E7E083
	v_cmp_le_u32_e64 s[40:41], v240, v64                       // 0000000233B8: D0CB0028 000281F0
	v_add_u32_e32 v240, 64, v240                               // 0000000233C0: 69E1E0C0
	s_nop 0                                                    // 0000000233C4: BF800000
	v_cndmask_b32_e64 v128, v66, v128, s[40:41]                // 0000000233C8: D1000080 00A30142
	v_cmp_le_u32_e64 s[40:41], v241, v64                       // 0000000233D0: D0CB0028 000281F1
	v_add_u32_e32 v241, 64, v241                               // 0000000233D8: 69E3E2C0
	s_nop 0                                                    // 0000000233DC: BF800000
	v_cndmask_b32_e64 v129, v66, v129, s[40:41]                // 0000000233E0: D1000081 00A30342
	v_cmp_le_u32_e64 s[40:41], v242, v64                       // 0000000233E8: D0CB0028 000281F2
	v_add_u32_e32 v242, 64, v242                               // 0000000233F0: 69E5E4C0
	s_nop 0                                                    // 0000000233F4: BF800000
	v_cndmask_b32_e64 v130, v66, v130, s[40:41]                // 0000000233F8: D1000082 00A30542
	v_cmp_le_u32_e64 s[40:41], v243, v64                       // 000000023400: D0CB0028 000281F3
	v_add_u32_e32 v243, 64, v243                               // 000000023408: 69E7E6C0
	s_nop 0                                                    // 00000002340C: BF800000
	v_cndmask_b32_e64 v131, v66, v131, s[40:41]                // 000000023410: D1000083 00A30742
	v_cmp_le_u32_e64 s[40:41], v240, v64                       // 000000023418: D0CB0028 000281F0
	v_add_u32_e32 v240, 64, v240                               // 000000023420: 69E1E0C0
	s_nop 0                                                    // 000000023424: BF800000
	v_cndmask_b32_e64 v132, v66, v132, s[40:41]                // 000000023428: D1000084 00A30942
	v_cmp_le_u32_e64 s[40:41], v241, v64                       // 000000023430: D0CB0028 000281F1
	v_add_u32_e32 v241, 64, v241                               // 000000023438: 69E3E2C0
	s_nop 0                                                    // 00000002343C: BF800000
	v_cndmask_b32_e64 v133, v66, v133, s[40:41]                // 000000023440: D1000085 00A30B42
	v_cmp_le_u32_e64 s[40:41], v242, v64                       // 000000023448: D0CB0028 000281F2
	v_add_u32_e32 v242, 64, v242                               // 000000023450: 69E5E4C0
	s_nop 0                                                    // 000000023454: BF800000
	v_cndmask_b32_e64 v134, v66, v134, s[40:41]                // 000000023458: D1000086 00A30D42
	v_cmp_le_u32_e64 s[40:41], v243, v64                       // 000000023460: D0CB0028 000281F3
	v_add_u32_e32 v243, 64, v243                               // 000000023468: 69E7E6C0
	s_nop 0                                                    // 00000002346C: BF800000
	v_cndmask_b32_e64 v135, v66, v135, s[40:41]                // 000000023470: D1000087 00A30F42
	v_cmp_le_u32_e64 s[40:41], v240, v64                       // 000000023478: D0CB0028 000281F0
	v_add_u32_e32 v240, 64, v240                               // 000000023480: 69E1E0C0
	s_nop 0                                                    // 000000023484: BF800000
	v_cndmask_b32_e64 v136, v66, v136, s[40:41]                // 000000023488: D1000088 00A31142
	v_cmp_le_u32_e64 s[40:41], v241, v64                       // 000000023490: D0CB0028 000281F1
	v_add_u32_e32 v241, 64, v241                               // 000000023498: 69E3E2C0
	s_nop 0                                                    // 00000002349C: BF800000
	v_cndmask_b32_e64 v137, v66, v137, s[40:41]                // 0000000234A0: D1000089 00A31342
	v_cmp_le_u32_e64 s[40:41], v242, v64                       // 0000000234A8: D0CB0028 000281F2
	v_add_u32_e32 v242, 64, v242                               // 0000000234B0: 69E5E4C0
	s_nop 0                                                    // 0000000234B4: BF800000
	v_cndmask_b32_e64 v138, v66, v138, s[40:41]                // 0000000234B8: D100008A 00A31542
	v_cmp_le_u32_e64 s[40:41], v243, v64                       // 0000000234C0: D0CB0028 000281F3
	v_add_u32_e32 v243, 64, v243                               // 0000000234C8: 69E7E6C0
	s_nop 0                                                    // 0000000234CC: BF800000
	v_cndmask_b32_e64 v139, v66, v139, s[40:41]                // 0000000234D0: D100008B 00A31742
	v_cmp_le_u32_e64 s[40:41], v240, v64                       // 0000000234D8: D0CB0028 000281F0
	v_add_u32_e32 v240, 64, v240                               // 0000000234E0: 69E1E0C0
	s_nop 0                                                    // 0000000234E4: BF800000
	v_cndmask_b32_e64 v140, v66, v140, s[40:41]                // 0000000234E8: D100008C 00A31942
	v_cmp_le_u32_e64 s[40:41], v241, v64                       // 0000000234F0: D0CB0028 000281F1
	v_add_u32_e32 v241, 64, v241                               // 0000000234F8: 69E3E2C0
	s_nop 0                                                    // 0000000234FC: BF800000
	v_cndmask_b32_e64 v141, v66, v141, s[40:41]                // 000000023500: D100008D 00A31B42
	v_cmp_le_u32_e64 s[40:41], v242, v64                       // 000000023508: D0CB0028 000281F2
	v_add_u32_e32 v242, 64, v242                               // 000000023510: 69E5E4C0
	s_nop 0                                                    // 000000023514: BF800000
	v_cndmask_b32_e64 v142, v66, v142, s[40:41]                // 000000023518: D100008E 00A31D42
	v_cmp_le_u32_e64 s[40:41], v243, v64                       // 000000023520: D0CB0028 000281F3
	v_add_u32_e32 v243, 64, v243                               // 000000023528: 69E7E6C0
	s_nop 0                                                    // 00000002352C: BF800000
	v_cndmask_b32_e64 v143, v66, v143, s[40:41]                // 000000023530: D100008F 00A31F42

0000000000023538 <label_84CE>:
	v_mov_b32_e32 v48, v128                                    // 000000023538: 7E600380
	v_max3_f32 v48, v128, v129, v48                            // 00000002353C: D1D30030 04C30380
	v_max3_f32 v48, v130, v131, v48                            // 000000023544: D1D30030 04C30782
	v_max3_f32 v48, v132, v133, v48                            // 00000002354C: D1D30030 04C30B84
	v_max3_f32 v48, v134, v135, v48                            // 000000023554: D1D30030 04C30F86
	v_max3_f32 v48, v136, v137, v48                            // 00000002355C: D1D30030 04C31388
	v_max3_f32 v48, v138, v139, v48                            // 000000023564: D1D30030 04C3178A
	v_max3_f32 v48, v140, v141, v48                            // 00000002356C: D1D30030 04C31B8C
	v_max3_f32 v48, v142, v143, v48                            // 000000023574: D1D30030 04C31F8E
	ds_write_b32 v8, v48 offset:16896                          // 00000002357C: D81A4200 00003008
	v_mul_f32_e32 v216, v50, v216                              // 000000023584: 0BB1B132
	v_mul_f32_e32 v217, v50, v217                              // 000000023588: 0BB3B332
	v_mul_f32_e32 v218, v50, v218                              // 00000002358C: 0BB5B532
	v_mul_f32_e32 v219, v50, v219                              // 000000023590: 0BB7B732
	v_mul_f32_e32 v220, v50, v220                              // 000000023594: 0BB9B932
	v_mul_f32_e32 v221, v50, v221                              // 000000023598: 0BBBBB32
	v_mul_f32_e32 v222, v50, v222                              // 00000002359C: 0BBDBD32
	v_mul_f32_e32 v223, v50, v223                              // 0000000235A0: 0BBFBF32
	s_waitcnt lgkmcnt(0)                                       // 0000000235A4: BF8CC07F
	s_barrier                                                  // 0000000235A8: BF8A0000
	ds_read_b32 v64, v7 offset:16896                           // 0000000235AC: D86C4200 40000007
	ds_read_b32 v65, v7 offset:16960                           // 0000000235B4: D86C4240 41000007
	ds_read_b32 v66, v7 offset:17024                           // 0000000235BC: D86C4280 42000007
	ds_read_b32 v67, v7 offset:17088                           // 0000000235C4: D86C42C0 43000007
	ds_read_b32 v68, v7 offset:17152                           // 0000000235CC: D86C4300 44000007
	ds_read_b32 v69, v7 offset:17216                           // 0000000235D4: D86C4340 45000007
	ds_read_b32 v70, v7 offset:17280                           // 0000000235DC: D86C4380 46000007
	ds_read_b32 v71, v7 offset:17344                           // 0000000235E4: D86C43C0 47000007
	ds_read_b32 v72, v7 offset:17408                           // 0000000235EC: D86C4400 48000007
	ds_read_b32 v73, v7 offset:17472                           // 0000000235F4: D86C4440 49000007
	ds_read_b32 v74, v7 offset:17536                           // 0000000235FC: D86C4480 4A000007
	ds_read_b32 v75, v7 offset:17600                           // 000000023604: D86C44C0 4B000007
	ds_read_b32 v76, v7 offset:17664                           // 00000002360C: D86C4500 4C000007
	ds_read_b32 v77, v7 offset:17728                           // 000000023614: D86C4540 4D000007
	ds_read_b32 v78, v7 offset:17792                           // 00000002361C: D86C4580 4E000007
	ds_read_b32 v79, v7 offset:17856                           // 000000023624: D86C45C0 4F000007
	v_cvt_f32_i32_e32 v184, v184                               // 00000002362C: 7F700BB8
	v_cvt_f32_i32_e32 v185, v185                               // 000000023630: 7F720BB9
	v_cvt_f32_i32_e32 v186, v186                               // 000000023634: 7F740BBA
	v_cvt_f32_i32_e32 v187, v187                               // 000000023638: 7F760BBB
	v_cvt_f32_i32_e32 v188, v188                               // 00000002363C: 7F780BBC
	v_cvt_f32_i32_e32 v189, v189                               // 000000023640: 7F7A0BBD
	v_cvt_f32_i32_e32 v190, v190                               // 000000023644: 7F7C0BBE
	v_cvt_f32_i32_e32 v191, v191                               // 000000023648: 7F7E0BBF
	v_mul_f32_e32 v184, v45, v184                              // 00000002364C: 0B71712D
	v_mul_f32_e32 v185, v45, v185                              // 000000023650: 0B73732D
	v_mul_f32_e32 v186, v45, v186                              // 000000023654: 0B75752D
	v_mul_f32_e32 v187, v45, v187                              // 000000023658: 0B77772D
	v_mul_f32_e32 v188, v45, v188                              // 00000002365C: 0B79792D
	v_mul_f32_e32 v189, v45, v189                              // 000000023660: 0B7B7B2D
	v_mul_f32_e32 v190, v45, v190                              // 000000023664: 0B7D7D2D
	v_mul_f32_e32 v191, v45, v191                              // 000000023668: 0B7F7F2D
	s_waitcnt lgkmcnt(0)                                       // 00000002366C: BF8CC07F
	v_max3_f32 v48, v64, v65, v48                              // 000000023670: D1D30030 04C28340
	v_max3_f32 v48, v66, v67, v48                              // 000000023678: D1D30030 04C28742
	v_max3_f32 v48, v68, v69, v48                              // 000000023680: D1D30030 04C28B44
	v_max3_f32 v48, v70, v71, v48                              // 000000023688: D1D30030 04C28F46
	v_max3_f32 v48, v72, v73, v48                              // 000000023690: D1D30030 04C29348
	v_max3_f32 v48, v74, v75, v48                              // 000000023698: D1D30030 04C2974A
	v_max3_f32 v48, v76, v77, v48                              // 0000000236A0: D1D30030 04C29B4C
	v_max3_f32 v48, v78, v79, v48                              // 0000000236A8: D1D30030 04C29F4E
	v_mov_b32_e32 v64, 0xff800000                              // 0000000236B0: 7E8002FF FF800000
	v_cmp_eq_u32_e64 s[40:41], v64, v12                        // 0000000236B8: D0CA0028 00021940
	s_nop 1                                                    // 0000000236C0: BF800001
	v_max_f32_e32 v15, v48, v12                                // 0000000236C4: 161E1930
	v_mul_f32_e32 v53, s64, v15                                // 0000000236C8: 0A6A1E40
	v_fma_f32 v128, v128, s64, -v53                            // 0000000236CC: D1CB0080 84D48180
	v_fma_f32 v129, v129, s64, -v53                            // 0000000236D4: D1CB0081 84D48181
	v_fma_f32 v130, v130, s64, -v53                            // 0000000236DC: D1CB0082 84D48182
	v_fma_f32 v131, v131, s64, -v53                            // 0000000236E4: D1CB0083 84D48183
	v_fma_f32 v132, v132, s64, -v53                            // 0000000236EC: D1CB0084 84D48184
	v_fma_f32 v133, v133, s64, -v53                            // 0000000236F4: D1CB0085 84D48185
	v_fma_f32 v134, v134, s64, -v53                            // 0000000236FC: D1CB0086 84D48186
	v_fma_f32 v135, v135, s64, -v53                            // 000000023704: D1CB0087 84D48187
	v_fma_f32 v136, v136, s64, -v53                            // 00000002370C: D1CB0088 84D48188
	v_fma_f32 v137, v137, s64, -v53                            // 000000023714: D1CB0089 84D48189
	v_fma_f32 v138, v138, s64, -v53                            // 00000002371C: D1CB008A 84D4818A
	v_fma_f32 v139, v139, s64, -v53                            // 000000023724: D1CB008B 84D4818B
	v_fma_f32 v140, v140, s64, -v53                            // 00000002372C: D1CB008C 84D4818C
	v_fma_f32 v141, v141, s64, -v53                            // 000000023734: D1CB008D 84D4818D
	v_fma_f32 v142, v142, s64, -v53                            // 00000002373C: D1CB008E 84D4818E
	v_fma_f32 v143, v143, s64, -v53                            // 000000023744: D1CB008F 84D4818F
	v_exp_f32_e32 v128, v128                                   // 00000002374C: 7F004180
	v_exp_f32_e32 v129, v129                                   // 000000023750: 7F024181
	v_exp_f32_e32 v130, v130                                   // 000000023754: 7F044182
	v_exp_f32_e32 v131, v131                                   // 000000023758: 7F064183
	v_exp_f32_e32 v132, v132                                   // 00000002375C: 7F084184
	v_exp_f32_e32 v133, v133                                   // 000000023760: 7F0A4185
	v_exp_f32_e32 v134, v134                                   // 000000023764: 7F0C4186
	v_exp_f32_e32 v135, v135                                   // 000000023768: 7F0E4187
	v_exp_f32_e32 v136, v136                                   // 00000002376C: 7F104188
	v_exp_f32_e32 v137, v137                                   // 000000023770: 7F124189
	v_exp_f32_e32 v138, v138                                   // 000000023774: 7F14418A
	v_exp_f32_e32 v139, v139                                   // 000000023778: 7F16418B
	v_exp_f32_e32 v140, v140                                   // 00000002377C: 7F18418C
	v_exp_f32_e32 v141, v141                                   // 000000023780: 7F1A418D
	v_exp_f32_e32 v142, v142                                   // 000000023784: 7F1C418E
	v_exp_f32_e32 v143, v143                                   // 000000023788: 7F1E418F
	v_mul_f32_dpp v240, v252, v128 quad_perm:[0,0,0,0] row_mask:0xf bank_mask:0xf// 00000002378C: 0BE100FA FF0000FC
	v_mul_f32_dpp v241, v252, v129 quad_perm:[1,1,1,1] row_mask:0xf bank_mask:0xf// 000000023794: 0BE302FA FF0055FC
	v_mul_f32_dpp v242, v252, v130 quad_perm:[2,2,2,2] row_mask:0xf bank_mask:0xf// 00000002379C: 0BE504FA FF00AAFC
	v_mul_f32_dpp v243, v252, v131 quad_perm:[3,3,3,3] row_mask:0xf bank_mask:0xf// 0000000237A4: 0BE706FA FF00FFFC
	v_mul_f32_dpp v244, v253, v132 quad_perm:[0,0,0,0] row_mask:0xf bank_mask:0xf// 0000000237AC: 0BE908FA FF0000FD
	v_mul_f32_dpp v245, v253, v133 quad_perm:[1,1,1,1] row_mask:0xf bank_mask:0xf// 0000000237B4: 0BEB0AFA FF0055FD
	v_mul_f32_dpp v246, v253, v134 quad_perm:[2,2,2,2] row_mask:0xf bank_mask:0xf// 0000000237BC: 0BED0CFA FF00AAFD
	v_mul_f32_dpp v247, v253, v135 quad_perm:[3,3,3,3] row_mask:0xf bank_mask:0xf// 0000000237C4: 0BEF0EFA FF00FFFD
	v_mul_f32_dpp v248, v254, v136 quad_perm:[0,0,0,0] row_mask:0xf bank_mask:0xf// 0000000237CC: 0BF110FA FF0000FE
	v_mul_f32_dpp v249, v254, v137 quad_perm:[1,1,1,1] row_mask:0xf bank_mask:0xf// 0000000237D4: 0BF312FA FF0055FE
	v_mul_f32_dpp v250, v254, v138 quad_perm:[2,2,2,2] row_mask:0xf bank_mask:0xf// 0000000237DC: 0BF514FA FF00AAFE
	v_mul_f32_dpp v251, v254, v139 quad_perm:[3,3,3,3] row_mask:0xf bank_mask:0xf// 0000000237E4: 0BF716FA FF00FFFE
	v_mul_f32_dpp v252, v255, v140 quad_perm:[0,0,0,0] row_mask:0xf bank_mask:0xf// 0000000237EC: 0BF918FA FF0000FF
	v_mul_f32_dpp v253, v255, v141 quad_perm:[1,1,1,1] row_mask:0xf bank_mask:0xf// 0000000237F4: 0BFB1AFA FF0055FF
	v_mul_f32_dpp v254, v255, v142 quad_perm:[2,2,2,2] row_mask:0xf bank_mask:0xf// 0000000237FC: 0BFD1CFA FF00AAFF
	v_mul_f32_dpp v255, v255, v143 quad_perm:[3,3,3,3] row_mask:0xf bank_mask:0xf// 000000023804: 0BFF1EFA FF00FFFF
	v_mov_b32_e32 v48, 0x358637bd                              // 00000002380C: 7E6002FF 358637BD
	v_max3_f32 v48, |v240|, |v241|, v48                        // 000000023814: D1D30330 04C3E3F0
	v_max3_f32 v48, |v242|, |v243|, v48                        // 00000002381C: D1D30330 04C3E7F2
	v_max3_f32 v48, |v244|, |v245|, v48                        // 000000023824: D1D30330 04C3EBF4
	v_max3_f32 v48, |v246|, |v247|, v48                        // 00000002382C: D1D30330 04C3EFF6
	v_max3_f32 v48, |v248|, |v249|, v48                        // 000000023834: D1D30330 04C3F3F8
	v_max3_f32 v48, |v250|, |v251|, v48                        // 00000002383C: D1D30330 04C3F7FA
	v_max3_f32 v48, |v252|, |v253|, v48                        // 000000023844: D1D30330 04C3FBFC
	v_max3_f32 v48, |v254|, |v255|, v48                        // 00000002384C: D1D30330 04C3FFFE
	ds_write_b32 v8, v48 offset:20992                          // 000000023854: D81A5200 00003008
	v_sub_f32_e32 v50, v12, v15                                // 00000002385C: 04641F0C
	v_cndmask_b32_e64 v50, v50, 0, s[40:41]                    // 000000023860: D1000032 00A10132
	v_mov_b32_e32 v12, v15                                     // 000000023868: 7E18030F
	v_mul_f32_e32 v50, s64, v50                                // 00000002386C: 0A646440
	v_exp_f32_e32 v50, v50                                     // 000000023870: 7E644132
	s_waitcnt lgkmcnt(0)                                       // 000000023874: BF8CC07F
	s_barrier                                                  // 000000023878: BF8A0000
	ds_read_b32 v64, v7 offset:20992                           // 00000002387C: D86C5200 40000007
	ds_read_b32 v65, v7 offset:21056                           // 000000023884: D86C5240 41000007
	ds_read_b32 v66, v7 offset:21120                           // 00000002388C: D86C5280 42000007
	ds_read_b32 v67, v7 offset:21184                           // 000000023894: D86C52C0 43000007
	ds_read_b32 v68, v7 offset:21248                           // 00000002389C: D86C5300 44000007
	ds_read_b32 v69, v7 offset:21312                           // 0000000238A4: D86C5340 45000007
	ds_read_b32 v70, v7 offset:21376                           // 0000000238AC: D86C5380 46000007
	ds_read_b32 v71, v7 offset:21440                           // 0000000238B4: D86C53C0 47000007
	ds_read_b32 v72, v7 offset:21504                           // 0000000238BC: D86C5400 48000007
	ds_read_b32 v73, v7 offset:21568                           // 0000000238C4: D86C5440 49000007
	ds_read_b32 v74, v7 offset:21632                           // 0000000238CC: D86C5480 4A000007
	ds_read_b32 v75, v7 offset:21696                           // 0000000238D4: D86C54C0 4B000007
	ds_read_b32 v76, v7 offset:21760                           // 0000000238DC: D86C5500 4C000007
	ds_read_b32 v77, v7 offset:21824                           // 0000000238E4: D86C5540 4D000007
	ds_read_b32 v78, v7 offset:21888                           // 0000000238EC: D86C5580 4E000007
	ds_read_b32 v79, v7 offset:21952                           // 0000000238F4: D86C55C0 4F000007
	v_mul_f32_e32 v39, v50, v39                                // 0000000238FC: 0A4E4F32
	v_mov_b32_e32 v15, v128                                    // 000000023900: 7E1E0380
	v_add_f32_e32 v15, v129, v15                               // 000000023904: 021E1F81
	v_add_f32_e32 v15, v130, v15                               // 000000023908: 021E1F82
	v_add_f32_e32 v15, v131, v15                               // 00000002390C: 021E1F83
	v_add_f32_e32 v15, v132, v15                               // 000000023910: 021E1F84
	v_add_f32_e32 v15, v133, v15                               // 000000023914: 021E1F85
	v_add_f32_e32 v15, v134, v15                               // 000000023918: 021E1F86
	v_add_f32_e32 v15, v135, v15                               // 00000002391C: 021E1F87
	v_add_f32_e32 v15, v136, v15                               // 000000023920: 021E1F88
	v_add_f32_e32 v15, v137, v15                               // 000000023924: 021E1F89
	v_add_f32_e32 v15, v138, v15                               // 000000023928: 021E1F8A
	v_add_f32_e32 v15, v139, v15                               // 00000002392C: 021E1F8B
	v_add_f32_e32 v15, v140, v15                               // 000000023930: 021E1F8C
	v_add_f32_e32 v15, v141, v15                               // 000000023934: 021E1F8D
	v_add_f32_e32 v15, v142, v15                               // 000000023938: 021E1F8E
	v_add_f32_e32 v15, v143, v15                               // 00000002393C: 021E1F8F
	v_add_f32_e32 v39, v15, v39                                // 000000023940: 024E4F0F
	s_waitcnt lgkmcnt(0)                                       // 000000023944: BF8CC07F
	v_max3_f32 v48, |v64|, |v65|, v48                          // 000000023948: D1D30330 04C28340
	v_max3_f32 v48, |v66|, |v67|, v48                          // 000000023950: D1D30330 04C28742
	v_max3_f32 v48, |v68|, |v69|, v48                          // 000000023958: D1D30330 04C28B44
	v_max3_f32 v48, |v70|, |v71|, v48                          // 000000023960: D1D30330 04C28F46
	v_max3_f32 v48, |v72|, |v73|, v48                          // 000000023968: D1D30330 04C29348
	v_max3_f32 v48, |v74|, |v75|, v48                          // 000000023970: D1D30330 04C2974A
	v_max3_f32 v48, |v76|, |v77|, v48                          // 000000023978: D1D30330 04C29B4C
	v_max3_f32 v48, |v78|, |v79|, v48                          // 000000023980: D1D30330 04C29F4E
	s_nop 2                                                    // 000000023988: BF800002
	v_rcp_f32_e32 v48, v48                                     // 00000002398C: 7E604530
	s_nop 1                                                    // 000000023990: BF800001
	v_mul_f32_e32 v48, 0x42fe0000, v48                         // 000000023994: 0A6060FF 42FE0000
	v_mul_f32_e32 v128, v48, v240                              // 00000002399C: 0B01E130
	v_mul_f32_e32 v129, v48, v241                              // 0000000239A0: 0B03E330
	v_mul_f32_e32 v130, v48, v242                              // 0000000239A4: 0B05E530
	v_mul_f32_e32 v131, v48, v243                              // 0000000239A8: 0B07E730
	v_mul_f32_e32 v132, v48, v244                              // 0000000239AC: 0B09E930
	v_mul_f32_e32 v133, v48, v245                              // 0000000239B0: 0B0BEB30
	v_mul_f32_e32 v134, v48, v246                              // 0000000239B4: 0B0DED30
	v_mul_f32_e32 v135, v48, v247                              // 0000000239B8: 0B0FEF30
	v_mul_f32_e32 v136, v48, v248                              // 0000000239BC: 0B11F130
	v_mul_f32_e32 v137, v48, v249                              // 0000000239C0: 0B13F330
	v_mul_f32_e32 v138, v48, v250                              // 0000000239C4: 0B15F530
	v_mul_f32_e32 v139, v48, v251                              // 0000000239C8: 0B17F730
	v_mul_f32_e32 v140, v48, v252                              // 0000000239CC: 0B19F930
	v_mul_f32_e32 v141, v48, v253                              // 0000000239D0: 0B1BFB30
	v_mul_f32_e32 v142, v48, v254                              // 0000000239D4: 0B1DFD30
	v_mul_f32_e32 v143, v48, v255                              // 0000000239D8: 0B1FFF30
	v_cvt_i32_f32_e32 v128, v128                               // 0000000239DC: 7F001180
	v_cvt_i32_f32_e32 v129, v129                               // 0000000239E0: 7F021181
	v_cvt_i32_f32_e32 v130, v130                               // 0000000239E4: 7F041182
	v_cvt_i32_f32_e32 v131, v131                               // 0000000239E8: 7F061183
	v_cvt_i32_f32_e32 v132, v132                               // 0000000239EC: 7F081184
	v_cvt_i32_f32_e32 v133, v133                               // 0000000239F0: 7F0A1185
	v_cvt_i32_f32_e32 v134, v134                               // 0000000239F4: 7F0C1186
	v_cvt_i32_f32_e32 v135, v135                               // 0000000239F8: 7F0E1187
	v_cvt_i32_f32_e32 v136, v136                               // 0000000239FC: 7F101188
	v_cvt_i32_f32_e32 v137, v137                               // 000000023A00: 7F121189
	v_cvt_i32_f32_e32 v138, v138                               // 000000023A04: 7F14118A
	v_cvt_i32_f32_e32 v139, v139                               // 000000023A08: 7F16118B
	v_cvt_i32_f32_e32 v140, v140                               // 000000023A0C: 7F18118C
	v_cvt_i32_f32_e32 v141, v141                               // 000000023A10: 7F1A118D
	v_cvt_i32_f32_e32 v142, v142                               // 000000023A14: 7F1C118E
	v_cvt_i32_f32_e32 v143, v143                               // 000000023A18: 7F1E118F
	v_perm_b32 v128, v129, v128, s53                           // 000000023A1C: D1ED0080 00D70181
	v_perm_b32 v128, v130, v128, s54                           // 000000023A24: D1ED0080 00DB0182
	v_perm_b32 v128, v131, v128, s55                           // 000000023A2C: D1ED0080 00DF0183
	v_perm_b32 v129, v133, v132, s53                           // 000000023A34: D1ED0081 00D70985
	v_perm_b32 v129, v134, v129, s54                           // 000000023A3C: D1ED0081 00DB0386
	v_perm_b32 v129, v135, v129, s55                           // 000000023A44: D1ED0081 00DF0387
	v_perm_b32 v130, v137, v136, s53                           // 000000023A4C: D1ED0082 00D71189
	v_perm_b32 v130, v138, v130, s54                           // 000000023A54: D1ED0082 00DB058A
	v_perm_b32 v130, v139, v130, s55                           // 000000023A5C: D1ED0082 00DF058B
	v_perm_b32 v131, v141, v140, s53                           // 000000023A64: D1ED0083 00D7198D
	v_perm_b32 v131, v142, v131, s54                           // 000000023A6C: D1ED0083 00DB078E
	v_perm_b32 v131, v143, v131, s55                           // 000000023A74: D1ED0083 00DF078F
	ds_write_b32 v10, v128 offset:29184                        // 000000023A7C: D81A7200 0000800A
	ds_write_b32 v10, v129 offset:30208                        // 000000023A84: D81A7600 0000810A
	ds_write_b32 v10, v130 offset:31232                        // 000000023A8C: D81A7A00 0000820A
	ds_write_b32 v10, v131 offset:32256                        // 000000023A94: D81A7E00 0000830A
	v_add_f32_e32 v216, v216, v184                             // 000000023A9C: 03B171D8
	v_add_f32_e32 v217, v217, v185                             // 000000023AA0: 03B373D9
	v_add_f32_e32 v218, v218, v186                             // 000000023AA4: 03B575DA
	v_add_f32_e32 v219, v219, v187                             // 000000023AA8: 03B777DB
	v_add_f32_e32 v220, v220, v188                             // 000000023AAC: 03B979DC
	v_add_f32_e32 v221, v221, v189                             // 000000023AB0: 03BB7BDD
	v_add_f32_e32 v222, v222, v190                             // 000000023AB4: 03BD7DDE
	v_add_f32_e32 v223, v223, v191                             // 000000023AB8: 03BF7FDF
	v_rcp_f32_e32 v45, v48                                     // 000000023ABC: 7E5A4530
	s_waitcnt lgkmcnt(0)                                       // 000000023AC0: BF8CC07F
	s_barrier                                                  // 000000023AC4: BF8A0000
	ds_read_b64 v[128:129], v9 offset:29184                    // 000000023AC8: D8EC7200 80000009
	ds_read_b64 v[130:131], v9 offset:29312                    // 000000023AD0: D8EC7280 82000009
	ds_read_b64 v[132:133], v9 offset:30208                    // 000000023AD8: D8EC7600 84000009
	ds_read_b64 v[134:135], v9 offset:30336                    // 000000023AE0: D8EC7680 86000009
	ds_read_b64 v[136:137], v9 offset:31232                    // 000000023AE8: D8EC7A00 88000009
	ds_read_b64 v[138:139], v9 offset:31360                    // 000000023AF0: D8EC7A80 8A000009
	ds_read_b64 v[140:141], v9 offset:32256                    // 000000023AF8: D8EC7E00 8C000009
	ds_read_b64 v[142:143], v9 offset:32384                    // 000000023B00: D8EC7E80 8E000009
	v_mov_b32_dpp v64, v43 row_shr:4 row_mask:0xf bank_mask:0xf// 000000023B08: 7E8002FA FF01142B
	v_mov_b32_dpp v65, v43 row_shl:4 row_mask:0xf bank_mask:0xf// 000000023B10: 7E8202FA FF01042B
	v_cndmask_b32_e64 v248, v43, v64, s[44:45]                 // 000000023B18: D10000F8 00B2812B
	v_cndmask_b32_e64 v249, v65, v43, s[44:45]                 // 000000023B20: D10000F9 00B25741
	v_mov_b32_dpp v64, v248 row_shr:8 row_mask:0xf bank_mask:0xf// 000000023B28: 7E8002FA FF0118F8
	v_mov_b32_dpp v65, v248 row_shl:8 row_mask:0xf bank_mask:0xf// 000000023B30: 7E8202FA FF0108F8
	v_mov_b32_dpp v66, v249 row_shr:8 row_mask:0xf bank_mask:0xf// 000000023B38: 7E8402FA FF0118F9
	v_mov_b32_dpp v67, v249 row_shl:8 row_mask:0xf bank_mask:0xf// 000000023B40: 7E8602FA FF0108F9
	v_mov_b32_e32 v68, v248                                    // 000000023B48: 7E8803F8
	v_mov_b32_e32 v69, v249                                    // 000000023B4C: 7E8A03F9
	v_cndmask_b32_e64 v248, v68, v64, s[42:43]                 // 000000023B50: D10000F8 00AA8144
	v_cndmask_b32_e64 v250, v68, v65, s[78:79]                 // 000000023B58: D10000FA 013A8344
	v_cndmask_b32_e64 v249, v69, v66, s[42:43]                 // 000000023B60: D10000F9 00AA8545
	v_cndmask_b32_e64 v251, v69, v67, s[78:79]                 // 000000023B68: D10000FB 013A8745
	v_mov_b32_dpp v64, v58 row_shr:4 row_mask:0xf bank_mask:0xf// 000000023B70: 7E8002FA FF01143A
	v_mov_b32_dpp v65, v58 row_shl:4 row_mask:0xf bank_mask:0xf// 000000023B78: 7E8202FA FF01043A
	v_cndmask_b32_e64 v252, v58, v64, s[44:45]                 // 000000023B80: D10000FC 00B2813A
	v_cndmask_b32_e64 v253, v65, v58, s[44:45]                 // 000000023B88: D10000FD 00B27541
	v_mov_b32_dpp v64, v252 row_shr:8 row_mask:0xf bank_mask:0xf// 000000023B90: 7E8002FA FF0118FC
	v_mov_b32_dpp v65, v252 row_shl:8 row_mask:0xf bank_mask:0xf// 000000023B98: 7E8202FA FF0108FC
	v_mov_b32_dpp v66, v253 row_shr:8 row_mask:0xf bank_mask:0xf// 000000023BA0: 7E8402FA FF0118FD
	v_mov_b32_dpp v67, v253 row_shl:8 row_mask:0xf bank_mask:0xf// 000000023BA8: 7E8602FA FF0108FD
	v_mov_b32_e32 v68, v252                                    // 000000023BB0: 7E8803FC
	v_mov_b32_e32 v69, v253                                    // 000000023BB4: 7E8A03FD
	v_cndmask_b32_e64 v252, v68, v64, s[42:43]                 // 000000023BB8: D10000FC 00AA8144
	v_cndmask_b32_e64 v254, v68, v65, s[78:79]                 // 000000023BC0: D10000FE 013A8344
	v_cndmask_b32_e64 v253, v69, v66, s[42:43]                 // 000000023BC8: D10000FD 00AA8545
	v_cndmask_b32_e64 v255, v69, v67, s[78:79]                 // 000000023BD0: D10000FF 013A8745
	v_cvt_f32_i32_e32 v144, v144                               // 000000023BD8: 7F200B90
	v_cvt_f32_i32_e32 v145, v145                               // 000000023BDC: 7F220B91
	v_cvt_f32_i32_e32 v146, v146                               // 000000023BE0: 7F240B92
	v_cvt_f32_i32_e32 v147, v147                               // 000000023BE4: 7F260B93
	v_cvt_f32_i32_e32 v148, v148                               // 000000023BE8: 7F280B94
	v_cvt_f32_i32_e32 v149, v149                               // 000000023BEC: 7F2A0B95
	v_cvt_f32_i32_e32 v150, v150                               // 000000023BF0: 7F2C0B96
	v_cvt_f32_i32_e32 v151, v151                               // 000000023BF4: 7F2E0B97
	v_cvt_f32_i32_e32 v152, v152                               // 000000023BF8: 7F300B98
	v_cvt_f32_i32_e32 v153, v153                               // 000000023BFC: 7F320B99
	v_cvt_f32_i32_e32 v154, v154                               // 000000023C00: 7F340B9A
	v_cvt_f32_i32_e32 v155, v155                               // 000000023C04: 7F360B9B
	v_cvt_f32_i32_e32 v156, v156                               // 000000023C08: 7F380B9C
	v_cvt_f32_i32_e32 v157, v157                               // 000000023C0C: 7F3A0B9D
	v_cvt_f32_i32_e32 v158, v158                               // 000000023C10: 7F3C0B9E
	v_cvt_f32_i32_e32 v159, v159                               // 000000023C14: 7F3E0B9F
	v_mul_f32_e32 v144, v20, v144                              // 000000023C18: 0B212114
	v_mul_f32_e32 v145, v20, v145                              // 000000023C1C: 0B232314
	v_mul_f32_e32 v146, v20, v146                              // 000000023C20: 0B252514
	v_mul_f32_e32 v147, v20, v147                              // 000000023C24: 0B272714
	v_mul_f32_e32 v148, v20, v148                              // 000000023C28: 0B292914
	v_mul_f32_e32 v149, v20, v149                              // 000000023C2C: 0B2B2B14
	v_mul_f32_e32 v150, v20, v150                              // 000000023C30: 0B2D2D14
	v_mul_f32_e32 v151, v20, v151                              // 000000023C34: 0B2F2F14
	v_mul_f32_e32 v152, v20, v152                              // 000000023C38: 0B313114
	v_mul_f32_e32 v153, v20, v153                              // 000000023C3C: 0B333314
	v_mul_f32_e32 v154, v20, v154                              // 000000023C40: 0B353514
	v_mul_f32_e32 v155, v20, v155                              // 000000023C44: 0B373714
	v_mul_f32_e32 v156, v20, v156                              // 000000023C48: 0B393914
	v_mul_f32_e32 v157, v20, v157                              // 000000023C4C: 0B3B3B14
	v_mul_f32_e32 v158, v20, v158                              // 000000023C50: 0B3D3D14
	v_mul_f32_e32 v159, v20, v159                              // 000000023C54: 0B3F3F14
	v_mul_f32_dpp v144, v248, v144 quad_perm:[0,0,0,0] row_mask:0xf bank_mask:0xf// 000000023C58: 0B2120FA FF0000F8
	v_mul_f32_dpp v145, v248, v145 quad_perm:[1,1,1,1] row_mask:0xf bank_mask:0xf// 000000023C60: 0B2322FA FF0055F8
	v_mul_f32_dpp v146, v248, v146 quad_perm:[2,2,2,2] row_mask:0xf bank_mask:0xf// 000000023C68: 0B2524FA FF00AAF8
	v_mul_f32_dpp v147, v248, v147 quad_perm:[3,3,3,3] row_mask:0xf bank_mask:0xf// 000000023C70: 0B2726FA FF00FFF8
	v_mul_f32_dpp v148, v249, v148 quad_perm:[0,0,0,0] row_mask:0xf bank_mask:0xf// 000000023C78: 0B2928FA FF0000F9
	v_mul_f32_dpp v149, v249, v149 quad_perm:[1,1,1,1] row_mask:0xf bank_mask:0xf// 000000023C80: 0B2B2AFA FF0055F9
	v_mul_f32_dpp v150, v249, v150 quad_perm:[2,2,2,2] row_mask:0xf bank_mask:0xf// 000000023C88: 0B2D2CFA FF00AAF9
	v_mul_f32_dpp v151, v249, v151 quad_perm:[3,3,3,3] row_mask:0xf bank_mask:0xf// 000000023C90: 0B2F2EFA FF00FFF9
	v_mul_f32_dpp v152, v250, v152 quad_perm:[0,0,0,0] row_mask:0xf bank_mask:0xf// 000000023C98: 0B3130FA FF0000FA
	v_mul_f32_dpp v153, v250, v153 quad_perm:[1,1,1,1] row_mask:0xf bank_mask:0xf// 000000023CA0: 0B3332FA FF0055FA
	v_mul_f32_dpp v154, v250, v154 quad_perm:[2,2,2,2] row_mask:0xf bank_mask:0xf// 000000023CA8: 0B3534FA FF00AAFA
	v_mul_f32_dpp v155, v250, v155 quad_perm:[3,3,3,3] row_mask:0xf bank_mask:0xf// 000000023CB0: 0B3736FA FF00FFFA
	v_mul_f32_dpp v156, v251, v156 quad_perm:[0,0,0,0] row_mask:0xf bank_mask:0xf// 000000023CB8: 0B3938FA FF0000FB
	v_mul_f32_dpp v157, v251, v157 quad_perm:[1,1,1,1] row_mask:0xf bank_mask:0xf// 000000023CC0: 0B3B3AFA FF0055FB
	v_mul_f32_dpp v158, v251, v158 quad_perm:[2,2,2,2] row_mask:0xf bank_mask:0xf// 000000023CC8: 0B3D3CFA FF00AAFB
	v_mul_f32_dpp v159, v251, v159 quad_perm:[3,3,3,3] row_mask:0xf bank_mask:0xf// 000000023CD0: 0B3F3EFA FF00FFFB
	s_cmp_le_i32 s90, s89                                      // 000000023CD8: BF05595A
	s_cbranch_scc1 label_8729                                  // 000000023CDC: BF850071
	v_mov_b32_e32 v66, 0xff800000                              // 000000023CE0: 7E8402FF FF800000
	s_mov_b32 s60, s90                                         // 000000023CE8: BEBC005A
	s_add_u32 s61, s89, 0xff                                   // 000000023CEC: 803DFF59 000000FF
	v_mov_b32_e32 v64, s61                                     // 000000023CF4: 7E80023D
	v_lshrrev_b32_e32 v240, 4, v0                              // 000000023CF8: 21E00084
	v_mul_i32_i24_e32 v240, 4, v240                            // 000000023CFC: 0DE1E084
	v_add_u32_e32 v240, s60, v240                              // 000000023D00: 69E1E03C
	s_mov_b32 s61, 2                                           // 000000023D04: BEBD0082
	s_mul_i32 s60, 16, s7                                      // 000000023D08: 923C0790
	v_sub_u32_e64 v240, v240, s61                              // 000000023D0C: D13500F0 00007BF0
	v_add_u32_e32 v240, s60, v240                              // 000000023D14: 69E1E03C
	v_add_u32_e32 v241, 1, v240                                // 000000023D18: 69E3E081
	v_add_u32_e32 v242, 2, v240                                // 000000023D1C: 69E5E082
	v_add_u32_e32 v243, 3, v240                                // 000000023D20: 69E7E083
	v_cmp_le_u32_e64 s[40:41], v240, v64                       // 000000023D24: D0CB0028 000281F0
	v_add_u32_e32 v240, 64, v240                               // 000000023D2C: 69E1E0C0
	s_nop 0                                                    // 000000023D30: BF800000
	v_cndmask_b32_e64 v144, v66, v144, s[40:41]                // 000000023D34: D1000090 00A32142
	v_cmp_le_u32_e64 s[40:41], v241, v64                       // 000000023D3C: D0CB0028 000281F1
	v_add_u32_e32 v241, 64, v241                               // 000000023D44: 69E3E2C0
	s_nop 0                                                    // 000000023D48: BF800000
	v_cndmask_b32_e64 v145, v66, v145, s[40:41]                // 000000023D4C: D1000091 00A32342
	v_cmp_le_u32_e64 s[40:41], v242, v64                       // 000000023D54: D0CB0028 000281F2
	v_add_u32_e32 v242, 64, v242                               // 000000023D5C: 69E5E4C0
	s_nop 0                                                    // 000000023D60: BF800000
	v_cndmask_b32_e64 v146, v66, v146, s[40:41]                // 000000023D64: D1000092 00A32542
	v_cmp_le_u32_e64 s[40:41], v243, v64                       // 000000023D6C: D0CB0028 000281F3
	v_add_u32_e32 v243, 64, v243                               // 000000023D74: 69E7E6C0
	s_nop 0                                                    // 000000023D78: BF800000
	v_cndmask_b32_e64 v147, v66, v147, s[40:41]                // 000000023D7C: D1000093 00A32742
	v_cmp_le_u32_e64 s[40:41], v240, v64                       // 000000023D84: D0CB0028 000281F0
	v_add_u32_e32 v240, 64, v240                               // 000000023D8C: 69E1E0C0
	s_nop 0                                                    // 000000023D90: BF800000
	v_cndmask_b32_e64 v148, v66, v148, s[40:41]                // 000000023D94: D1000094 00A32942
	v_cmp_le_u32_e64 s[40:41], v241, v64                       // 000000023D9C: D0CB0028 000281F1
	v_add_u32_e32 v241, 64, v241                               // 000000023DA4: 69E3E2C0
	s_nop 0                                                    // 000000023DA8: BF800000
	v_cndmask_b32_e64 v149, v66, v149, s[40:41]                // 000000023DAC: D1000095 00A32B42
	v_cmp_le_u32_e64 s[40:41], v242, v64                       // 000000023DB4: D0CB0028 000281F2
	v_add_u32_e32 v242, 64, v242                               // 000000023DBC: 69E5E4C0
	s_nop 0                                                    // 000000023DC0: BF800000
	v_cndmask_b32_e64 v150, v66, v150, s[40:41]                // 000000023DC4: D1000096 00A32D42
	v_cmp_le_u32_e64 s[40:41], v243, v64                       // 000000023DCC: D0CB0028 000281F3
	v_add_u32_e32 v243, 64, v243                               // 000000023DD4: 69E7E6C0
	s_nop 0                                                    // 000000023DD8: BF800000
	v_cndmask_b32_e64 v151, v66, v151, s[40:41]                // 000000023DDC: D1000097 00A32F42
	v_cmp_le_u32_e64 s[40:41], v240, v64                       // 000000023DE4: D0CB0028 000281F0
	v_add_u32_e32 v240, 64, v240                               // 000000023DEC: 69E1E0C0
	s_nop 0                                                    // 000000023DF0: BF800000
	v_cndmask_b32_e64 v152, v66, v152, s[40:41]                // 000000023DF4: D1000098 00A33142
	v_cmp_le_u32_e64 s[40:41], v241, v64                       // 000000023DFC: D0CB0028 000281F1
	v_add_u32_e32 v241, 64, v241                               // 000000023E04: 69E3E2C0
	s_nop 0                                                    // 000000023E08: BF800000
	v_cndmask_b32_e64 v153, v66, v153, s[40:41]                // 000000023E0C: D1000099 00A33342
	v_cmp_le_u32_e64 s[40:41], v242, v64                       // 000000023E14: D0CB0028 000281F2
	v_add_u32_e32 v242, 64, v242                               // 000000023E1C: 69E5E4C0
	s_nop 0                                                    // 000000023E20: BF800000
	v_cndmask_b32_e64 v154, v66, v154, s[40:41]                // 000000023E24: D100009A 00A33542
	v_cmp_le_u32_e64 s[40:41], v243, v64                       // 000000023E2C: D0CB0028 000281F3
	v_add_u32_e32 v243, 64, v243                               // 000000023E34: 69E7E6C0
	s_nop 0                                                    // 000000023E38: BF800000
	v_cndmask_b32_e64 v155, v66, v155, s[40:41]                // 000000023E3C: D100009B 00A33742
	v_cmp_le_u32_e64 s[40:41], v240, v64                       // 000000023E44: D0CB0028 000281F0
	v_add_u32_e32 v240, 64, v240                               // 000000023E4C: 69E1E0C0
	s_nop 0                                                    // 000000023E50: BF800000
	v_cndmask_b32_e64 v156, v66, v156, s[40:41]                // 000000023E54: D100009C 00A33942
	v_cmp_le_u32_e64 s[40:41], v241, v64                       // 000000023E5C: D0CB0028 000281F1
	v_add_u32_e32 v241, 64, v241                               // 000000023E64: 69E3E2C0
	s_nop 0                                                    // 000000023E68: BF800000
	v_cndmask_b32_e64 v157, v66, v157, s[40:41]                // 000000023E6C: D100009D 00A33B42
	v_cmp_le_u32_e64 s[40:41], v242, v64                       // 000000023E74: D0CB0028 000281F2
	v_add_u32_e32 v242, 64, v242                               // 000000023E7C: 69E5E4C0
	s_nop 0                                                    // 000000023E80: BF800000
	v_cndmask_b32_e64 v158, v66, v158, s[40:41]                // 000000023E84: D100009E 00A33D42
	v_cmp_le_u32_e64 s[40:41], v243, v64                       // 000000023E8C: D0CB0028 000281F3
	v_add_u32_e32 v243, 64, v243                               // 000000023E94: 69E7E6C0
	s_nop 0                                                    // 000000023E98: BF800000
	v_cndmask_b32_e64 v159, v66, v159, s[40:41]                // 000000023E9C: D100009F 00A33F42

0000000000023ea4 <label_8729>:
	v_mov_b32_e32 v48, v144                                    // 000000023EA4: 7E600390
	v_max3_f32 v48, v144, v145, v48                            // 000000023EA8: D1D30030 04C32390
	v_max3_f32 v48, v146, v147, v48                            // 000000023EB0: D1D30030 04C32792
	v_max3_f32 v48, v148, v149, v48                            // 000000023EB8: D1D30030 04C32B94
	v_max3_f32 v48, v150, v151, v48                            // 000000023EC0: D1D30030 04C32F96
	v_max3_f32 v48, v152, v153, v48                            // 000000023EC8: D1D30030 04C33398
	v_max3_f32 v48, v154, v155, v48                            // 000000023ED0: D1D30030 04C3379A
	v_max3_f32 v48, v156, v157, v48                            // 000000023ED8: D1D30030 04C33B9C
	v_max3_f32 v48, v158, v159, v48                            // 000000023EE0: D1D30030 04C33F9E
	ds_write_b32 v8, v48 offset:16896                          // 000000023EE8: D81A4200 00003008
	v_mul_f32_e32 v224, v51, v224                              // 000000023EF0: 0BC1C133
	v_mul_f32_e32 v225, v51, v225                              // 000000023EF4: 0BC3C333
	v_mul_f32_e32 v226, v51, v226                              // 000000023EF8: 0BC5C533
	v_mul_f32_e32 v227, v51, v227                              // 000000023EFC: 0BC7C733
	v_mul_f32_e32 v228, v51, v228                              // 000000023F00: 0BC9C933
	v_mul_f32_e32 v229, v51, v229                              // 000000023F04: 0BCBCB33
	v_mul_f32_e32 v230, v51, v230                              // 000000023F08: 0BCDCD33
	v_mul_f32_e32 v231, v51, v231                              // 000000023F0C: 0BCFCF33
	s_waitcnt lgkmcnt(0)                                       // 000000023F10: BF8CC07F
	s_barrier                                                  // 000000023F14: BF8A0000
	ds_read_b32 v64, v7 offset:16896                           // 000000023F18: D86C4200 40000007
	ds_read_b32 v65, v7 offset:16960                           // 000000023F20: D86C4240 41000007
	ds_read_b32 v66, v7 offset:17024                           // 000000023F28: D86C4280 42000007
	ds_read_b32 v67, v7 offset:17088                           // 000000023F30: D86C42C0 43000007
	ds_read_b32 v68, v7 offset:17152                           // 000000023F38: D86C4300 44000007
	ds_read_b32 v69, v7 offset:17216                           // 000000023F40: D86C4340 45000007
	ds_read_b32 v70, v7 offset:17280                           // 000000023F48: D86C4380 46000007
	ds_read_b32 v71, v7 offset:17344                           // 000000023F50: D86C43C0 47000007
	ds_read_b32 v72, v7 offset:17408                           // 000000023F58: D86C4400 48000007
	ds_read_b32 v73, v7 offset:17472                           // 000000023F60: D86C4440 49000007
	ds_read_b32 v74, v7 offset:17536                           // 000000023F68: D86C4480 4A000007
	ds_read_b32 v75, v7 offset:17600                           // 000000023F70: D86C44C0 4B000007
	ds_read_b32 v76, v7 offset:17664                           // 000000023F78: D86C4500 4C000007
	ds_read_b32 v77, v7 offset:17728                           // 000000023F80: D86C4540 4D000007
	ds_read_b32 v78, v7 offset:17792                           // 000000023F88: D86C4580 4E000007
	ds_read_b32 v79, v7 offset:17856                           // 000000023F90: D86C45C0 4F000007
	v_cvt_f32_i32_e32 v192, v192                               // 000000023F98: 7F800BC0
	v_cvt_f32_i32_e32 v193, v193                               // 000000023F9C: 7F820BC1
	v_cvt_f32_i32_e32 v194, v194                               // 000000023FA0: 7F840BC2
	v_cvt_f32_i32_e32 v195, v195                               // 000000023FA4: 7F860BC3
	v_cvt_f32_i32_e32 v196, v196                               // 000000023FA8: 7F880BC4
	v_cvt_f32_i32_e32 v197, v197                               // 000000023FAC: 7F8A0BC5
	v_cvt_f32_i32_e32 v198, v198                               // 000000023FB0: 7F8C0BC6
	v_cvt_f32_i32_e32 v199, v199                               // 000000023FB4: 7F8E0BC7
	v_mul_f32_e32 v192, v46, v192                              // 000000023FB8: 0B81812E
	v_mul_f32_e32 v193, v46, v193                              // 000000023FBC: 0B83832E
	v_mul_f32_e32 v194, v46, v194                              // 000000023FC0: 0B85852E
	v_mul_f32_e32 v195, v46, v195                              // 000000023FC4: 0B87872E
	v_mul_f32_e32 v196, v46, v196                              // 000000023FC8: 0B89892E
	v_mul_f32_e32 v197, v46, v197                              // 000000023FCC: 0B8B8B2E
	v_mul_f32_e32 v198, v46, v198                              // 000000023FD0: 0B8D8D2E
	v_mul_f32_e32 v199, v46, v199                              // 000000023FD4: 0B8F8F2E
	s_waitcnt lgkmcnt(0)                                       // 000000023FD8: BF8CC07F
	v_max3_f32 v48, v64, v65, v48                              // 000000023FDC: D1D30030 04C28340
	v_max3_f32 v48, v66, v67, v48                              // 000000023FE4: D1D30030 04C28742
	v_max3_f32 v48, v68, v69, v48                              // 000000023FEC: D1D30030 04C28B44
	v_max3_f32 v48, v70, v71, v48                              // 000000023FF4: D1D30030 04C28F46
	v_max3_f32 v48, v72, v73, v48                              // 000000023FFC: D1D30030 04C29348
	v_max3_f32 v48, v74, v75, v48                              // 000000024004: D1D30030 04C2974A
	v_max3_f32 v48, v76, v77, v48                              // 00000002400C: D1D30030 04C29B4C
	v_max3_f32 v48, v78, v79, v48                              // 000000024014: D1D30030 04C29F4E
	v_mov_b32_e32 v64, 0xff800000                              // 00000002401C: 7E8002FF FF800000
	v_cmp_eq_u32_e64 s[40:41], v64, v13                        // 000000024024: D0CA0028 00021B40
	s_nop 1                                                    // 00000002402C: BF800001
	v_max_f32_e32 v15, v48, v13                                // 000000024030: 161E1B30
	v_mul_f32_e32 v53, s64, v15                                // 000000024034: 0A6A1E40
	v_fma_f32 v144, v144, s64, -v53                            // 000000024038: D1CB0090 84D48190
	v_fma_f32 v145, v145, s64, -v53                            // 000000024040: D1CB0091 84D48191
	v_fma_f32 v146, v146, s64, -v53                            // 000000024048: D1CB0092 84D48192
	v_fma_f32 v147, v147, s64, -v53                            // 000000024050: D1CB0093 84D48193
	v_fma_f32 v148, v148, s64, -v53                            // 000000024058: D1CB0094 84D48194
	v_fma_f32 v149, v149, s64, -v53                            // 000000024060: D1CB0095 84D48195
	v_fma_f32 v150, v150, s64, -v53                            // 000000024068: D1CB0096 84D48196
	v_fma_f32 v151, v151, s64, -v53                            // 000000024070: D1CB0097 84D48197
	v_fma_f32 v152, v152, s64, -v53                            // 000000024078: D1CB0098 84D48198
	v_fma_f32 v153, v153, s64, -v53                            // 000000024080: D1CB0099 84D48199
	v_fma_f32 v154, v154, s64, -v53                            // 000000024088: D1CB009A 84D4819A
	v_fma_f32 v155, v155, s64, -v53                            // 000000024090: D1CB009B 84D4819B
	v_fma_f32 v156, v156, s64, -v53                            // 000000024098: D1CB009C 84D4819C
	v_fma_f32 v157, v157, s64, -v53                            // 0000000240A0: D1CB009D 84D4819D
	v_fma_f32 v158, v158, s64, -v53                            // 0000000240A8: D1CB009E 84D4819E
	v_fma_f32 v159, v159, s64, -v53                            // 0000000240B0: D1CB009F 84D4819F
	v_exp_f32_e32 v144, v144                                   // 0000000240B8: 7F204190
	v_exp_f32_e32 v145, v145                                   // 0000000240BC: 7F224191
	v_exp_f32_e32 v146, v146                                   // 0000000240C0: 7F244192
	v_exp_f32_e32 v147, v147                                   // 0000000240C4: 7F264193
	v_exp_f32_e32 v148, v148                                   // 0000000240C8: 7F284194
	v_exp_f32_e32 v149, v149                                   // 0000000240CC: 7F2A4195
	v_exp_f32_e32 v150, v150                                   // 0000000240D0: 7F2C4196
	v_exp_f32_e32 v151, v151                                   // 0000000240D4: 7F2E4197
	v_exp_f32_e32 v152, v152                                   // 0000000240D8: 7F304198
	v_exp_f32_e32 v153, v153                                   // 0000000240DC: 7F324199
	v_exp_f32_e32 v154, v154                                   // 0000000240E0: 7F34419A
	v_exp_f32_e32 v155, v155                                   // 0000000240E4: 7F36419B
	v_exp_f32_e32 v156, v156                                   // 0000000240E8: 7F38419C
	v_exp_f32_e32 v157, v157                                   // 0000000240EC: 7F3A419D
	v_exp_f32_e32 v158, v158                                   // 0000000240F0: 7F3C419E
	v_exp_f32_e32 v159, v159                                   // 0000000240F4: 7F3E419F
	v_mul_f32_dpp v240, v252, v144 quad_perm:[0,0,0,0] row_mask:0xf bank_mask:0xf// 0000000240F8: 0BE120FA FF0000FC
	v_mul_f32_dpp v241, v252, v145 quad_perm:[1,1,1,1] row_mask:0xf bank_mask:0xf// 000000024100: 0BE322FA FF0055FC
	v_mul_f32_dpp v242, v252, v146 quad_perm:[2,2,2,2] row_mask:0xf bank_mask:0xf// 000000024108: 0BE524FA FF00AAFC
	v_mul_f32_dpp v243, v252, v147 quad_perm:[3,3,3,3] row_mask:0xf bank_mask:0xf// 000000024110: 0BE726FA FF00FFFC
	v_mul_f32_dpp v244, v253, v148 quad_perm:[0,0,0,0] row_mask:0xf bank_mask:0xf// 000000024118: 0BE928FA FF0000FD
	v_mul_f32_dpp v245, v253, v149 quad_perm:[1,1,1,1] row_mask:0xf bank_mask:0xf// 000000024120: 0BEB2AFA FF0055FD
	v_mul_f32_dpp v246, v253, v150 quad_perm:[2,2,2,2] row_mask:0xf bank_mask:0xf// 000000024128: 0BED2CFA FF00AAFD
	v_mul_f32_dpp v247, v253, v151 quad_perm:[3,3,3,3] row_mask:0xf bank_mask:0xf// 000000024130: 0BEF2EFA FF00FFFD
	v_mul_f32_dpp v248, v254, v152 quad_perm:[0,0,0,0] row_mask:0xf bank_mask:0xf// 000000024138: 0BF130FA FF0000FE
	v_mul_f32_dpp v249, v254, v153 quad_perm:[1,1,1,1] row_mask:0xf bank_mask:0xf// 000000024140: 0BF332FA FF0055FE
	v_mul_f32_dpp v250, v254, v154 quad_perm:[2,2,2,2] row_mask:0xf bank_mask:0xf// 000000024148: 0BF534FA FF00AAFE
	v_mul_f32_dpp v251, v254, v155 quad_perm:[3,3,3,3] row_mask:0xf bank_mask:0xf// 000000024150: 0BF736FA FF00FFFE
	v_mul_f32_dpp v252, v255, v156 quad_perm:[0,0,0,0] row_mask:0xf bank_mask:0xf// 000000024158: 0BF938FA FF0000FF
	v_mul_f32_dpp v253, v255, v157 quad_perm:[1,1,1,1] row_mask:0xf bank_mask:0xf// 000000024160: 0BFB3AFA FF0055FF
	v_mul_f32_dpp v254, v255, v158 quad_perm:[2,2,2,2] row_mask:0xf bank_mask:0xf// 000000024168: 0BFD3CFA FF00AAFF
	v_mul_f32_dpp v255, v255, v159 quad_perm:[3,3,3,3] row_mask:0xf bank_mask:0xf// 000000024170: 0BFF3EFA FF00FFFF
	v_mov_b32_e32 v48, 0x358637bd                              // 000000024178: 7E6002FF 358637BD
	v_max3_f32 v48, |v240|, |v241|, v48                        // 000000024180: D1D30330 04C3E3F0
	v_max3_f32 v48, |v242|, |v243|, v48                        // 000000024188: D1D30330 04C3E7F2
	v_max3_f32 v48, |v244|, |v245|, v48                        // 000000024190: D1D30330 04C3EBF4
	v_max3_f32 v48, |v246|, |v247|, v48                        // 000000024198: D1D30330 04C3EFF6
	v_max3_f32 v48, |v248|, |v249|, v48                        // 0000000241A0: D1D30330 04C3F3F8
	v_max3_f32 v48, |v250|, |v251|, v48                        // 0000000241A8: D1D30330 04C3F7FA
	v_max3_f32 v48, |v252|, |v253|, v48                        // 0000000241B0: D1D30330 04C3FBFC
	v_max3_f32 v48, |v254|, |v255|, v48                        // 0000000241B8: D1D30330 04C3FFFE
	ds_write_b32 v8, v48 offset:20992                          // 0000000241C0: D81A5200 00003008
	v_sub_f32_e32 v51, v13, v15                                // 0000000241C8: 04661F0D
	v_cndmask_b32_e64 v51, v51, 0, s[40:41]                    // 0000000241CC: D1000033 00A10133
	v_mov_b32_e32 v13, v15                                     // 0000000241D4: 7E1A030F
	v_mul_f32_e32 v51, s64, v51                                // 0000000241D8: 0A666640
	v_exp_f32_e32 v51, v51                                     // 0000000241DC: 7E664133
	s_waitcnt lgkmcnt(0)                                       // 0000000241E0: BF8CC07F
	s_barrier                                                  // 0000000241E4: BF8A0000
	ds_read_b32 v64, v7 offset:20992                           // 0000000241E8: D86C5200 40000007
	ds_read_b32 v65, v7 offset:21056                           // 0000000241F0: D86C5240 41000007
	ds_read_b32 v66, v7 offset:21120                           // 0000000241F8: D86C5280 42000007
	ds_read_b32 v67, v7 offset:21184                           // 000000024200: D86C52C0 43000007
	ds_read_b32 v68, v7 offset:21248                           // 000000024208: D86C5300 44000007
	ds_read_b32 v69, v7 offset:21312                           // 000000024210: D86C5340 45000007
	ds_read_b32 v70, v7 offset:21376                           // 000000024218: D86C5380 46000007
	ds_read_b32 v71, v7 offset:21440                           // 000000024220: D86C53C0 47000007
	ds_read_b32 v72, v7 offset:21504                           // 000000024228: D86C5400 48000007
	ds_read_b32 v73, v7 offset:21568                           // 000000024230: D86C5440 49000007
	ds_read_b32 v74, v7 offset:21632                           // 000000024238: D86C5480 4A000007
	ds_read_b32 v75, v7 offset:21696                           // 000000024240: D86C54C0 4B000007
	ds_read_b32 v76, v7 offset:21760                           // 000000024248: D86C5500 4C000007
	ds_read_b32 v77, v7 offset:21824                           // 000000024250: D86C5540 4D000007
	ds_read_b32 v78, v7 offset:21888                           // 000000024258: D86C5580 4E000007
	ds_read_b32 v79, v7 offset:21952                           // 000000024260: D86C55C0 4F000007
	v_mul_f32_e32 v40, v51, v40                                // 000000024268: 0A505133
	v_mov_b32_e32 v15, v144                                    // 00000002426C: 7E1E0390
	v_add_f32_e32 v15, v145, v15                               // 000000024270: 021E1F91
	v_add_f32_e32 v15, v146, v15                               // 000000024274: 021E1F92
	v_add_f32_e32 v15, v147, v15                               // 000000024278: 021E1F93
	v_add_f32_e32 v15, v148, v15                               // 00000002427C: 021E1F94
	v_add_f32_e32 v15, v149, v15                               // 000000024280: 021E1F95
	v_add_f32_e32 v15, v150, v15                               // 000000024284: 021E1F96
	v_add_f32_e32 v15, v151, v15                               // 000000024288: 021E1F97
	v_add_f32_e32 v15, v152, v15                               // 00000002428C: 021E1F98
	v_add_f32_e32 v15, v153, v15                               // 000000024290: 021E1F99
	v_add_f32_e32 v15, v154, v15                               // 000000024294: 021E1F9A
	v_add_f32_e32 v15, v155, v15                               // 000000024298: 021E1F9B
	v_add_f32_e32 v15, v156, v15                               // 00000002429C: 021E1F9C
	v_add_f32_e32 v15, v157, v15                               // 0000000242A0: 021E1F9D
	v_add_f32_e32 v15, v158, v15                               // 0000000242A4: 021E1F9E
	v_add_f32_e32 v15, v159, v15                               // 0000000242A8: 021E1F9F
	v_add_f32_e32 v40, v15, v40                                // 0000000242AC: 0250510F
	s_waitcnt lgkmcnt(0)                                       // 0000000242B0: BF8CC07F
	v_max3_f32 v48, |v64|, |v65|, v48                          // 0000000242B4: D1D30330 04C28340
	v_max3_f32 v48, |v66|, |v67|, v48                          // 0000000242BC: D1D30330 04C28742
	v_max3_f32 v48, |v68|, |v69|, v48                          // 0000000242C4: D1D30330 04C28B44
	v_max3_f32 v48, |v70|, |v71|, v48                          // 0000000242CC: D1D30330 04C28F46
	v_max3_f32 v48, |v72|, |v73|, v48                          // 0000000242D4: D1D30330 04C29348
	v_max3_f32 v48, |v74|, |v75|, v48                          // 0000000242DC: D1D30330 04C2974A
	v_max3_f32 v48, |v76|, |v77|, v48                          // 0000000242E4: D1D30330 04C29B4C
	v_max3_f32 v48, |v78|, |v79|, v48                          // 0000000242EC: D1D30330 04C29F4E
	s_nop 2                                                    // 0000000242F4: BF800002
	v_rcp_f32_e32 v48, v48                                     // 0000000242F8: 7E604530
	s_nop 1                                                    // 0000000242FC: BF800001
	v_mul_f32_e32 v48, 0x42fe0000, v48                         // 000000024300: 0A6060FF 42FE0000
	v_mul_f32_e32 v144, v48, v240                              // 000000024308: 0B21E130
	v_mul_f32_e32 v145, v48, v241                              // 00000002430C: 0B23E330
	v_mul_f32_e32 v146, v48, v242                              // 000000024310: 0B25E530
	v_mul_f32_e32 v147, v48, v243                              // 000000024314: 0B27E730
	v_mul_f32_e32 v148, v48, v244                              // 000000024318: 0B29E930
	v_mul_f32_e32 v149, v48, v245                              // 00000002431C: 0B2BEB30
	v_mul_f32_e32 v150, v48, v246                              // 000000024320: 0B2DED30
	v_mul_f32_e32 v151, v48, v247                              // 000000024324: 0B2FEF30
	v_mul_f32_e32 v152, v48, v248                              // 000000024328: 0B31F130
	v_mul_f32_e32 v153, v48, v249                              // 00000002432C: 0B33F330
	v_mul_f32_e32 v154, v48, v250                              // 000000024330: 0B35F530
	v_mul_f32_e32 v155, v48, v251                              // 000000024334: 0B37F730
	v_mul_f32_e32 v156, v48, v252                              // 000000024338: 0B39F930
	v_mul_f32_e32 v157, v48, v253                              // 00000002433C: 0B3BFB30
	v_mul_f32_e32 v158, v48, v254                              // 000000024340: 0B3DFD30
	v_mul_f32_e32 v159, v48, v255                              // 000000024344: 0B3FFF30
	v_cvt_i32_f32_e32 v144, v144                               // 000000024348: 7F201190
	v_cvt_i32_f32_e32 v145, v145                               // 00000002434C: 7F221191
	v_cvt_i32_f32_e32 v146, v146                               // 000000024350: 7F241192
	v_cvt_i32_f32_e32 v147, v147                               // 000000024354: 7F261193
	v_cvt_i32_f32_e32 v148, v148                               // 000000024358: 7F281194
	v_cvt_i32_f32_e32 v149, v149                               // 00000002435C: 7F2A1195
	v_cvt_i32_f32_e32 v150, v150                               // 000000024360: 7F2C1196
	v_cvt_i32_f32_e32 v151, v151                               // 000000024364: 7F2E1197
	v_cvt_i32_f32_e32 v152, v152                               // 000000024368: 7F301198
	v_cvt_i32_f32_e32 v153, v153                               // 00000002436C: 7F321199
	v_cvt_i32_f32_e32 v154, v154                               // 000000024370: 7F34119A
	v_cvt_i32_f32_e32 v155, v155                               // 000000024374: 7F36119B
	v_cvt_i32_f32_e32 v156, v156                               // 000000024378: 7F38119C
	v_cvt_i32_f32_e32 v157, v157                               // 00000002437C: 7F3A119D
	v_cvt_i32_f32_e32 v158, v158                               // 000000024380: 7F3C119E
	v_cvt_i32_f32_e32 v159, v159                               // 000000024384: 7F3E119F
	v_perm_b32 v144, v145, v144, s53                           // 000000024388: D1ED0090 00D72191
	v_perm_b32 v144, v146, v144, s54                           // 000000024390: D1ED0090 00DB2192
	v_perm_b32 v144, v147, v144, s55                           // 000000024398: D1ED0090 00DF2193
	v_perm_b32 v145, v149, v148, s53                           // 0000000243A0: D1ED0091 00D72995
	v_perm_b32 v145, v150, v145, s54                           // 0000000243A8: D1ED0091 00DB2396
	v_perm_b32 v145, v151, v145, s55                           // 0000000243B0: D1ED0091 00DF2397
	v_perm_b32 v146, v153, v152, s53                           // 0000000243B8: D1ED0092 00D73199
	v_perm_b32 v146, v154, v146, s54                           // 0000000243C0: D1ED0092 00DB259A
	v_perm_b32 v146, v155, v146, s55                           // 0000000243C8: D1ED0092 00DF259B
	v_perm_b32 v147, v157, v156, s53                           // 0000000243D0: D1ED0093 00D7399D
	v_perm_b32 v147, v158, v147, s54                           // 0000000243D8: D1ED0093 00DB279E
	v_perm_b32 v147, v159, v147, s55                           // 0000000243E0: D1ED0093 00DF279F
	ds_write_b32 v10, v144 offset:33280                        // 0000000243E8: D81A8200 0000900A
	ds_write_b32 v10, v145 offset:34304                        // 0000000243F0: D81A8600 0000910A
	ds_write_b32 v10, v146 offset:35328                        // 0000000243F8: D81A8A00 0000920A
	ds_write_b32 v10, v147 offset:36352                        // 000000024400: D81A8E00 0000930A
	v_add_f32_e32 v224, v224, v192                             // 000000024408: 03C181E0
	v_add_f32_e32 v225, v225, v193                             // 00000002440C: 03C383E1
	v_add_f32_e32 v226, v226, v194                             // 000000024410: 03C585E2
	v_add_f32_e32 v227, v227, v195                             // 000000024414: 03C787E3
	v_add_f32_e32 v228, v228, v196                             // 000000024418: 03C989E4
	v_add_f32_e32 v229, v229, v197                             // 00000002441C: 03CB8BE5
	v_add_f32_e32 v230, v230, v198                             // 000000024420: 03CD8DE6
	v_add_f32_e32 v231, v231, v199                             // 000000024424: 03CF8FE7
	v_rcp_f32_e32 v46, v48                                     // 000000024428: 7E5C4530
	s_waitcnt lgkmcnt(0)                                       // 00000002442C: BF8CC07F
	s_barrier                                                  // 000000024430: BF8A0000
	ds_read_b64 v[144:145], v9 offset:33280                    // 000000024434: D8EC8200 90000009
	ds_read_b64 v[146:147], v9 offset:33408                    // 00000002443C: D8EC8280 92000009
	ds_read_b64 v[148:149], v9 offset:34304                    // 000000024444: D8EC8600 94000009
	ds_read_b64 v[150:151], v9 offset:34432                    // 00000002444C: D8EC8680 96000009
	ds_read_b64 v[152:153], v9 offset:35328                    // 000000024454: D8EC8A00 98000009
	ds_read_b64 v[154:155], v9 offset:35456                    // 00000002445C: D8EC8A80 9A000009
	ds_read_b64 v[156:157], v9 offset:36352                    // 000000024464: D8EC8E00 9C000009
	ds_read_b64 v[158:159], v9 offset:36480                    // 00000002446C: D8EC8E80 9E000009
	v_mov_b32_dpp v64, v43 row_shr:4 row_mask:0xf bank_mask:0xf// 000000024474: 7E8002FA FF01142B
	v_mov_b32_dpp v65, v43 row_shl:4 row_mask:0xf bank_mask:0xf// 00000002447C: 7E8202FA FF01042B
	v_cndmask_b32_e64 v248, v43, v64, s[44:45]                 // 000000024484: D10000F8 00B2812B
	v_cndmask_b32_e64 v249, v65, v43, s[44:45]                 // 00000002448C: D10000F9 00B25741
	v_mov_b32_dpp v64, v248 row_shr:8 row_mask:0xf bank_mask:0xf// 000000024494: 7E8002FA FF0118F8
	v_mov_b32_dpp v65, v248 row_shl:8 row_mask:0xf bank_mask:0xf// 00000002449C: 7E8202FA FF0108F8
	v_mov_b32_dpp v66, v249 row_shr:8 row_mask:0xf bank_mask:0xf// 0000000244A4: 7E8402FA FF0118F9
	v_mov_b32_dpp v67, v249 row_shl:8 row_mask:0xf bank_mask:0xf// 0000000244AC: 7E8602FA FF0108F9
	v_mov_b32_e32 v68, v248                                    // 0000000244B4: 7E8803F8
	v_mov_b32_e32 v69, v249                                    // 0000000244B8: 7E8A03F9
	v_cndmask_b32_e64 v248, v68, v64, s[42:43]                 // 0000000244BC: D10000F8 00AA8144
	v_cndmask_b32_e64 v250, v68, v65, s[78:79]                 // 0000000244C4: D10000FA 013A8344
	v_cndmask_b32_e64 v249, v69, v66, s[42:43]                 // 0000000244CC: D10000F9 00AA8545
	v_cndmask_b32_e64 v251, v69, v67, s[78:79]                 // 0000000244D4: D10000FB 013A8745
	v_mov_b32_dpp v64, v58 row_shr:4 row_mask:0xf bank_mask:0xf// 0000000244DC: 7E8002FA FF01143A
	v_mov_b32_dpp v65, v58 row_shl:4 row_mask:0xf bank_mask:0xf// 0000000244E4: 7E8202FA FF01043A
	v_cndmask_b32_e64 v252, v58, v64, s[44:45]                 // 0000000244EC: D10000FC 00B2813A
	v_cndmask_b32_e64 v253, v65, v58, s[44:45]                 // 0000000244F4: D10000FD 00B27541
	v_mov_b32_dpp v64, v252 row_shr:8 row_mask:0xf bank_mask:0xf// 0000000244FC: 7E8002FA FF0118FC
	v_mov_b32_dpp v65, v252 row_shl:8 row_mask:0xf bank_mask:0xf// 000000024504: 7E8202FA FF0108FC
	v_mov_b32_dpp v66, v253 row_shr:8 row_mask:0xf bank_mask:0xf// 00000002450C: 7E8402FA FF0118FD
	v_mov_b32_dpp v67, v253 row_shl:8 row_mask:0xf bank_mask:0xf// 000000024514: 7E8602FA FF0108FD
	v_mov_b32_e32 v68, v252                                    // 00000002451C: 7E8803FC
	v_mov_b32_e32 v69, v253                                    // 000000024520: 7E8A03FD
	v_cndmask_b32_e64 v252, v68, v64, s[42:43]                 // 000000024524: D10000FC 00AA8144
	v_cndmask_b32_e64 v254, v68, v65, s[78:79]                 // 00000002452C: D10000FE 013A8344
	v_cndmask_b32_e64 v253, v69, v66, s[42:43]                 // 000000024534: D10000FD 00AA8545
	v_cndmask_b32_e64 v255, v69, v67, s[78:79]                 // 00000002453C: D10000FF 013A8745
	v_cvt_f32_i32_e32 v160, v160                               // 000000024544: 7F400BA0
	v_cvt_f32_i32_e32 v161, v161                               // 000000024548: 7F420BA1
	v_cvt_f32_i32_e32 v162, v162                               // 00000002454C: 7F440BA2
	v_cvt_f32_i32_e32 v163, v163                               // 000000024550: 7F460BA3
	v_cvt_f32_i32_e32 v164, v164                               // 000000024554: 7F480BA4
	v_cvt_f32_i32_e32 v165, v165                               // 000000024558: 7F4A0BA5
	v_cvt_f32_i32_e32 v166, v166                               // 00000002455C: 7F4C0BA6
	v_cvt_f32_i32_e32 v167, v167                               // 000000024560: 7F4E0BA7
	v_cvt_f32_i32_e32 v168, v168                               // 000000024564: 7F500BA8
	v_cvt_f32_i32_e32 v169, v169                               // 000000024568: 7F520BA9
	v_cvt_f32_i32_e32 v170, v170                               // 00000002456C: 7F540BAA
	v_cvt_f32_i32_e32 v171, v171                               // 000000024570: 7F560BAB
	v_cvt_f32_i32_e32 v172, v172                               // 000000024574: 7F580BAC
	v_cvt_f32_i32_e32 v173, v173                               // 000000024578: 7F5A0BAD
	v_cvt_f32_i32_e32 v174, v174                               // 00000002457C: 7F5C0BAE
	v_cvt_f32_i32_e32 v175, v175                               // 000000024580: 7F5E0BAF
	v_mul_f32_e32 v160, v21, v160                              // 000000024584: 0B414115
	v_mul_f32_e32 v161, v21, v161                              // 000000024588: 0B434315
	v_mul_f32_e32 v162, v21, v162                              // 00000002458C: 0B454515
	v_mul_f32_e32 v163, v21, v163                              // 000000024590: 0B474715
	v_mul_f32_e32 v164, v21, v164                              // 000000024594: 0B494915
	v_mul_f32_e32 v165, v21, v165                              // 000000024598: 0B4B4B15
	v_mul_f32_e32 v166, v21, v166                              // 00000002459C: 0B4D4D15
	v_mul_f32_e32 v167, v21, v167                              // 0000000245A0: 0B4F4F15
	v_mul_f32_e32 v168, v21, v168                              // 0000000245A4: 0B515115
	v_mul_f32_e32 v169, v21, v169                              // 0000000245A8: 0B535315
	v_mul_f32_e32 v170, v21, v170                              // 0000000245AC: 0B555515
	v_mul_f32_e32 v171, v21, v171                              // 0000000245B0: 0B575715
	v_mul_f32_e32 v172, v21, v172                              // 0000000245B4: 0B595915
	v_mul_f32_e32 v173, v21, v173                              // 0000000245B8: 0B5B5B15
	v_mul_f32_e32 v174, v21, v174                              // 0000000245BC: 0B5D5D15
	v_mul_f32_e32 v175, v21, v175                              // 0000000245C0: 0B5F5F15
	v_mul_f32_dpp v160, v248, v160 quad_perm:[0,0,0,0] row_mask:0xf bank_mask:0xf// 0000000245C4: 0B4140FA FF0000F8
	v_mul_f32_dpp v161, v248, v161 quad_perm:[1,1,1,1] row_mask:0xf bank_mask:0xf// 0000000245CC: 0B4342FA FF0055F8
	v_mul_f32_dpp v162, v248, v162 quad_perm:[2,2,2,2] row_mask:0xf bank_mask:0xf// 0000000245D4: 0B4544FA FF00AAF8
	v_mul_f32_dpp v163, v248, v163 quad_perm:[3,3,3,3] row_mask:0xf bank_mask:0xf// 0000000245DC: 0B4746FA FF00FFF8
	v_mul_f32_dpp v164, v249, v164 quad_perm:[0,0,0,0] row_mask:0xf bank_mask:0xf// 0000000245E4: 0B4948FA FF0000F9
	v_mul_f32_dpp v165, v249, v165 quad_perm:[1,1,1,1] row_mask:0xf bank_mask:0xf// 0000000245EC: 0B4B4AFA FF0055F9
	v_mul_f32_dpp v166, v249, v166 quad_perm:[2,2,2,2] row_mask:0xf bank_mask:0xf// 0000000245F4: 0B4D4CFA FF00AAF9
	v_mul_f32_dpp v167, v249, v167 quad_perm:[3,3,3,3] row_mask:0xf bank_mask:0xf// 0000000245FC: 0B4F4EFA FF00FFF9
	v_mul_f32_dpp v168, v250, v168 quad_perm:[0,0,0,0] row_mask:0xf bank_mask:0xf// 000000024604: 0B5150FA FF0000FA
	v_mul_f32_dpp v169, v250, v169 quad_perm:[1,1,1,1] row_mask:0xf bank_mask:0xf// 00000002460C: 0B5352FA FF0055FA
	v_mul_f32_dpp v170, v250, v170 quad_perm:[2,2,2,2] row_mask:0xf bank_mask:0xf// 000000024614: 0B5554FA FF00AAFA
	v_mul_f32_dpp v171, v250, v171 quad_perm:[3,3,3,3] row_mask:0xf bank_mask:0xf// 00000002461C: 0B5756FA FF00FFFA
	v_mul_f32_dpp v172, v251, v172 quad_perm:[0,0,0,0] row_mask:0xf bank_mask:0xf// 000000024624: 0B5958FA FF0000FB
	v_mul_f32_dpp v173, v251, v173 quad_perm:[1,1,1,1] row_mask:0xf bank_mask:0xf// 00000002462C: 0B5B5AFA FF0055FB
	v_mul_f32_dpp v174, v251, v174 quad_perm:[2,2,2,2] row_mask:0xf bank_mask:0xf// 000000024634: 0B5D5CFA FF00AAFB
	v_mul_f32_dpp v175, v251, v175 quad_perm:[3,3,3,3] row_mask:0xf bank_mask:0xf// 00000002463C: 0B5F5EFA FF00FFFB
	s_cmp_le_i32 s90, s89                                      // 000000024644: BF05595A
	s_cbranch_scc1 label_8984                                  // 000000024648: BF850071
	v_mov_b32_e32 v66, 0xff800000                              // 00000002464C: 7E8402FF FF800000
	s_mov_b32 s60, s90                                         // 000000024654: BEBC005A
	s_add_u32 s61, s89, 0xff                                   // 000000024658: 803DFF59 000000FF
	v_mov_b32_e32 v64, s61                                     // 000000024660: 7E80023D
	v_lshrrev_b32_e32 v240, 4, v0                              // 000000024664: 21E00084
	v_mul_i32_i24_e32 v240, 4, v240                            // 000000024668: 0DE1E084
	v_add_u32_e32 v240, s60, v240                              // 00000002466C: 69E1E03C
	s_mov_b32 s61, 3                                           // 000000024670: BEBD0083
	s_mul_i32 s60, 16, s7                                      // 000000024674: 923C0790
	v_sub_u32_e64 v240, v240, s61                              // 000000024678: D13500F0 00007BF0
	v_add_u32_e32 v240, s60, v240                              // 000000024680: 69E1E03C
	v_add_u32_e32 v241, 1, v240                                // 000000024684: 69E3E081
	v_add_u32_e32 v242, 2, v240                                // 000000024688: 69E5E082
	v_add_u32_e32 v243, 3, v240                                // 00000002468C: 69E7E083
	v_cmp_le_u32_e64 s[40:41], v240, v64                       // 000000024690: D0CB0028 000281F0
	v_add_u32_e32 v240, 64, v240                               // 000000024698: 69E1E0C0
	s_nop 0                                                    // 00000002469C: BF800000
	v_cndmask_b32_e64 v160, v66, v160, s[40:41]                // 0000000246A0: D10000A0 00A34142
	v_cmp_le_u32_e64 s[40:41], v241, v64                       // 0000000246A8: D0CB0028 000281F1
	v_add_u32_e32 v241, 64, v241                               // 0000000246B0: 69E3E2C0
	s_nop 0                                                    // 0000000246B4: BF800000
	v_cndmask_b32_e64 v161, v66, v161, s[40:41]                // 0000000246B8: D10000A1 00A34342
	v_cmp_le_u32_e64 s[40:41], v242, v64                       // 0000000246C0: D0CB0028 000281F2
	v_add_u32_e32 v242, 64, v242                               // 0000000246C8: 69E5E4C0
	s_nop 0                                                    // 0000000246CC: BF800000
	v_cndmask_b32_e64 v162, v66, v162, s[40:41]                // 0000000246D0: D10000A2 00A34542
	v_cmp_le_u32_e64 s[40:41], v243, v64                       // 0000000246D8: D0CB0028 000281F3
	v_add_u32_e32 v243, 64, v243                               // 0000000246E0: 69E7E6C0
	s_nop 0                                                    // 0000000246E4: BF800000
	v_cndmask_b32_e64 v163, v66, v163, s[40:41]                // 0000000246E8: D10000A3 00A34742
	v_cmp_le_u32_e64 s[40:41], v240, v64                       // 0000000246F0: D0CB0028 000281F0
	v_add_u32_e32 v240, 64, v240                               // 0000000246F8: 69E1E0C0
	s_nop 0                                                    // 0000000246FC: BF800000
	v_cndmask_b32_e64 v164, v66, v164, s[40:41]                // 000000024700: D10000A4 00A34942
	v_cmp_le_u32_e64 s[40:41], v241, v64                       // 000000024708: D0CB0028 000281F1
	v_add_u32_e32 v241, 64, v241                               // 000000024710: 69E3E2C0
	s_nop 0                                                    // 000000024714: BF800000
	v_cndmask_b32_e64 v165, v66, v165, s[40:41]                // 000000024718: D10000A5 00A34B42
	v_cmp_le_u32_e64 s[40:41], v242, v64                       // 000000024720: D0CB0028 000281F2
	v_add_u32_e32 v242, 64, v242                               // 000000024728: 69E5E4C0
	s_nop 0                                                    // 00000002472C: BF800000
	v_cndmask_b32_e64 v166, v66, v166, s[40:41]                // 000000024730: D10000A6 00A34D42
	v_cmp_le_u32_e64 s[40:41], v243, v64                       // 000000024738: D0CB0028 000281F3
	v_add_u32_e32 v243, 64, v243                               // 000000024740: 69E7E6C0
	s_nop 0                                                    // 000000024744: BF800000
	v_cndmask_b32_e64 v167, v66, v167, s[40:41]                // 000000024748: D10000A7 00A34F42
	v_cmp_le_u32_e64 s[40:41], v240, v64                       // 000000024750: D0CB0028 000281F0
	v_add_u32_e32 v240, 64, v240                               // 000000024758: 69E1E0C0
	s_nop 0                                                    // 00000002475C: BF800000
	v_cndmask_b32_e64 v168, v66, v168, s[40:41]                // 000000024760: D10000A8 00A35142
	v_cmp_le_u32_e64 s[40:41], v241, v64                       // 000000024768: D0CB0028 000281F1
	v_add_u32_e32 v241, 64, v241                               // 000000024770: 69E3E2C0
	s_nop 0                                                    // 000000024774: BF800000
	v_cndmask_b32_e64 v169, v66, v169, s[40:41]                // 000000024778: D10000A9 00A35342
	v_cmp_le_u32_e64 s[40:41], v242, v64                       // 000000024780: D0CB0028 000281F2
	v_add_u32_e32 v242, 64, v242                               // 000000024788: 69E5E4C0
	s_nop 0                                                    // 00000002478C: BF800000
	v_cndmask_b32_e64 v170, v66, v170, s[40:41]                // 000000024790: D10000AA 00A35542
	v_cmp_le_u32_e64 s[40:41], v243, v64                       // 000000024798: D0CB0028 000281F3
	v_add_u32_e32 v243, 64, v243                               // 0000000247A0: 69E7E6C0
	s_nop 0                                                    // 0000000247A4: BF800000
	v_cndmask_b32_e64 v171, v66, v171, s[40:41]                // 0000000247A8: D10000AB 00A35742
	v_cmp_le_u32_e64 s[40:41], v240, v64                       // 0000000247B0: D0CB0028 000281F0
	v_add_u32_e32 v240, 64, v240                               // 0000000247B8: 69E1E0C0
	s_nop 0                                                    // 0000000247BC: BF800000
	v_cndmask_b32_e64 v172, v66, v172, s[40:41]                // 0000000247C0: D10000AC 00A35942
	v_cmp_le_u32_e64 s[40:41], v241, v64                       // 0000000247C8: D0CB0028 000281F1
	v_add_u32_e32 v241, 64, v241                               // 0000000247D0: 69E3E2C0
	s_nop 0                                                    // 0000000247D4: BF800000
	v_cndmask_b32_e64 v173, v66, v173, s[40:41]                // 0000000247D8: D10000AD 00A35B42
	v_cmp_le_u32_e64 s[40:41], v242, v64                       // 0000000247E0: D0CB0028 000281F2
	v_add_u32_e32 v242, 64, v242                               // 0000000247E8: 69E5E4C0
	s_nop 0                                                    // 0000000247EC: BF800000
	v_cndmask_b32_e64 v174, v66, v174, s[40:41]                // 0000000247F0: D10000AE 00A35D42
	v_cmp_le_u32_e64 s[40:41], v243, v64                       // 0000000247F8: D0CB0028 000281F3
	v_add_u32_e32 v243, 64, v243                               // 000000024800: 69E7E6C0
	s_nop 0                                                    // 000000024804: BF800000
	v_cndmask_b32_e64 v175, v66, v175, s[40:41]                // 000000024808: D10000AF 00A35F42

0000000000024810 <label_8984>:
	s_add_u32 s90, s91, s90                                    // 000000024810: 805A5A5B
	v_mov_b32_e32 v48, v160                                    // 000000024814: 7E6003A0
	v_max3_f32 v48, v160, v161, v48                            // 000000024818: D1D30030 04C343A0
	v_max3_f32 v48, v162, v163, v48                            // 000000024820: D1D30030 04C347A2
	v_max3_f32 v48, v164, v165, v48                            // 000000024828: D1D30030 04C34BA4
	v_max3_f32 v48, v166, v167, v48                            // 000000024830: D1D30030 04C34FA6
	v_max3_f32 v48, v168, v169, v48                            // 000000024838: D1D30030 04C353A8
	v_max3_f32 v48, v170, v171, v48                            // 000000024840: D1D30030 04C357AA
	v_max3_f32 v48, v172, v173, v48                            // 000000024848: D1D30030 04C35BAC
	v_max3_f32 v48, v174, v175, v48                            // 000000024850: D1D30030 04C35FAE
	ds_write_b32 v8, v48 offset:16896                          // 000000024858: D81A4200 00003008
	v_mul_f32_e32 v232, v52, v232                              // 000000024860: 0BD1D134
	v_mul_f32_e32 v233, v52, v233                              // 000000024864: 0BD3D334
	v_mul_f32_e32 v234, v52, v234                              // 000000024868: 0BD5D534
	v_mul_f32_e32 v235, v52, v235                              // 00000002486C: 0BD7D734
	v_mul_f32_e32 v236, v52, v236                              // 000000024870: 0BD9D934
	v_mul_f32_e32 v237, v52, v237                              // 000000024874: 0BDBDB34
	v_mul_f32_e32 v238, v52, v238                              // 000000024878: 0BDDDD34
	v_mul_f32_e32 v239, v52, v239                              // 00000002487C: 0BDFDF34
	s_waitcnt lgkmcnt(0)                                       // 000000024880: BF8CC07F
	s_barrier                                                  // 000000024884: BF8A0000
	ds_read_b32 v64, v7 offset:16896                           // 000000024888: D86C4200 40000007
	ds_read_b32 v65, v7 offset:16960                           // 000000024890: D86C4240 41000007
	ds_read_b32 v66, v7 offset:17024                           // 000000024898: D86C4280 42000007
	ds_read_b32 v67, v7 offset:17088                           // 0000000248A0: D86C42C0 43000007
	ds_read_b32 v68, v7 offset:17152                           // 0000000248A8: D86C4300 44000007
	ds_read_b32 v69, v7 offset:17216                           // 0000000248B0: D86C4340 45000007
	ds_read_b32 v70, v7 offset:17280                           // 0000000248B8: D86C4380 46000007
	ds_read_b32 v71, v7 offset:17344                           // 0000000248C0: D86C43C0 47000007
	ds_read_b32 v72, v7 offset:17408                           // 0000000248C8: D86C4400 48000007
	ds_read_b32 v73, v7 offset:17472                           // 0000000248D0: D86C4440 49000007
	ds_read_b32 v74, v7 offset:17536                           // 0000000248D8: D86C4480 4A000007
	ds_read_b32 v75, v7 offset:17600                           // 0000000248E0: D86C44C0 4B000007
	ds_read_b32 v76, v7 offset:17664                           // 0000000248E8: D86C4500 4C000007
	ds_read_b32 v77, v7 offset:17728                           // 0000000248F0: D86C4540 4D000007
	ds_read_b32 v78, v7 offset:17792                           // 0000000248F8: D86C4580 4E000007
	ds_read_b32 v79, v7 offset:17856                           // 000000024900: D86C45C0 4F000007
	v_cvt_f32_i32_e32 v200, v200                               // 000000024908: 7F900BC8
	v_cvt_f32_i32_e32 v201, v201                               // 00000002490C: 7F920BC9
	v_cvt_f32_i32_e32 v202, v202                               // 000000024910: 7F940BCA
	v_cvt_f32_i32_e32 v203, v203                               // 000000024914: 7F960BCB
	v_cvt_f32_i32_e32 v204, v204                               // 000000024918: 7F980BCC
	v_cvt_f32_i32_e32 v205, v205                               // 00000002491C: 7F9A0BCD
	v_cvt_f32_i32_e32 v206, v206                               // 000000024920: 7F9C0BCE
	v_cvt_f32_i32_e32 v207, v207                               // 000000024924: 7F9E0BCF
	v_mul_f32_e32 v200, v47, v200                              // 000000024928: 0B91912F
	v_mul_f32_e32 v201, v47, v201                              // 00000002492C: 0B93932F
	v_mul_f32_e32 v202, v47, v202                              // 000000024930: 0B95952F
	v_mul_f32_e32 v203, v47, v203                              // 000000024934: 0B97972F
	v_mul_f32_e32 v204, v47, v204                              // 000000024938: 0B99992F
	v_mul_f32_e32 v205, v47, v205                              // 00000002493C: 0B9B9B2F
	v_mul_f32_e32 v206, v47, v206                              // 000000024940: 0B9D9D2F
	v_mul_f32_e32 v207, v47, v207                              // 000000024944: 0B9F9F2F
	s_waitcnt lgkmcnt(0)                                       // 000000024948: BF8CC07F
	v_max3_f32 v48, v64, v65, v48                              // 00000002494C: D1D30030 04C28340
	v_max3_f32 v48, v66, v67, v48                              // 000000024954: D1D30030 04C28742
	v_max3_f32 v48, v68, v69, v48                              // 00000002495C: D1D30030 04C28B44
	v_max3_f32 v48, v70, v71, v48                              // 000000024964: D1D30030 04C28F46
	v_max3_f32 v48, v72, v73, v48                              // 00000002496C: D1D30030 04C29348
	v_max3_f32 v48, v74, v75, v48                              // 000000024974: D1D30030 04C2974A
	v_max3_f32 v48, v76, v77, v48                              // 00000002497C: D1D30030 04C29B4C
	v_max3_f32 v48, v78, v79, v48                              // 000000024984: D1D30030 04C29F4E
	v_mov_b32_e32 v64, 0xff800000                              // 00000002498C: 7E8002FF FF800000
	v_cmp_eq_u32_e64 s[40:41], v64, v14                        // 000000024994: D0CA0028 00021D40
	s_nop 1                                                    // 00000002499C: BF800001
	v_max_f32_e32 v15, v48, v14                                // 0000000249A0: 161E1D30
	v_mul_f32_e32 v53, s64, v15                                // 0000000249A4: 0A6A1E40
	v_fma_f32 v160, v160, s64, -v53                            // 0000000249A8: D1CB00A0 84D481A0
	v_fma_f32 v161, v161, s64, -v53                            // 0000000249B0: D1CB00A1 84D481A1
	v_fma_f32 v162, v162, s64, -v53                            // 0000000249B8: D1CB00A2 84D481A2
	v_fma_f32 v163, v163, s64, -v53                            // 0000000249C0: D1CB00A3 84D481A3
	v_fma_f32 v164, v164, s64, -v53                            // 0000000249C8: D1CB00A4 84D481A4
	v_fma_f32 v165, v165, s64, -v53                            // 0000000249D0: D1CB00A5 84D481A5
	v_fma_f32 v166, v166, s64, -v53                            // 0000000249D8: D1CB00A6 84D481A6
	v_fma_f32 v167, v167, s64, -v53                            // 0000000249E0: D1CB00A7 84D481A7
	v_fma_f32 v168, v168, s64, -v53                            // 0000000249E8: D1CB00A8 84D481A8
	v_fma_f32 v169, v169, s64, -v53                            // 0000000249F0: D1CB00A9 84D481A9
	v_fma_f32 v170, v170, s64, -v53                            // 0000000249F8: D1CB00AA 84D481AA
	v_fma_f32 v171, v171, s64, -v53                            // 000000024A00: D1CB00AB 84D481AB
	v_fma_f32 v172, v172, s64, -v53                            // 000000024A08: D1CB00AC 84D481AC
	v_fma_f32 v173, v173, s64, -v53                            // 000000024A10: D1CB00AD 84D481AD
	v_fma_f32 v174, v174, s64, -v53                            // 000000024A18: D1CB00AE 84D481AE
	v_fma_f32 v175, v175, s64, -v53                            // 000000024A20: D1CB00AF 84D481AF
	v_exp_f32_e32 v160, v160                                   // 000000024A28: 7F4041A0
	v_exp_f32_e32 v161, v161                                   // 000000024A2C: 7F4241A1
	v_exp_f32_e32 v162, v162                                   // 000000024A30: 7F4441A2
	v_exp_f32_e32 v163, v163                                   // 000000024A34: 7F4641A3
	v_exp_f32_e32 v164, v164                                   // 000000024A38: 7F4841A4
	v_exp_f32_e32 v165, v165                                   // 000000024A3C: 7F4A41A5
	v_exp_f32_e32 v166, v166                                   // 000000024A40: 7F4C41A6
	v_exp_f32_e32 v167, v167                                   // 000000024A44: 7F4E41A7
	v_exp_f32_e32 v168, v168                                   // 000000024A48: 7F5041A8
	v_exp_f32_e32 v169, v169                                   // 000000024A4C: 7F5241A9
	v_exp_f32_e32 v170, v170                                   // 000000024A50: 7F5441AA
	v_exp_f32_e32 v171, v171                                   // 000000024A54: 7F5641AB
	v_exp_f32_e32 v172, v172                                   // 000000024A58: 7F5841AC
	v_exp_f32_e32 v173, v173                                   // 000000024A5C: 7F5A41AD
	v_exp_f32_e32 v174, v174                                   // 000000024A60: 7F5C41AE
	v_exp_f32_e32 v175, v175                                   // 000000024A64: 7F5E41AF
	v_mul_f32_dpp v240, v252, v160 quad_perm:[0,0,0,0] row_mask:0xf bank_mask:0xf// 000000024A68: 0BE140FA FF0000FC
	v_mul_f32_dpp v241, v252, v161 quad_perm:[1,1,1,1] row_mask:0xf bank_mask:0xf// 000000024A70: 0BE342FA FF0055FC
	v_mul_f32_dpp v242, v252, v162 quad_perm:[2,2,2,2] row_mask:0xf bank_mask:0xf// 000000024A78: 0BE544FA FF00AAFC
	v_mul_f32_dpp v243, v252, v163 quad_perm:[3,3,3,3] row_mask:0xf bank_mask:0xf// 000000024A80: 0BE746FA FF00FFFC
	v_mul_f32_dpp v244, v253, v164 quad_perm:[0,0,0,0] row_mask:0xf bank_mask:0xf// 000000024A88: 0BE948FA FF0000FD
	v_mul_f32_dpp v245, v253, v165 quad_perm:[1,1,1,1] row_mask:0xf bank_mask:0xf// 000000024A90: 0BEB4AFA FF0055FD
	v_mul_f32_dpp v246, v253, v166 quad_perm:[2,2,2,2] row_mask:0xf bank_mask:0xf// 000000024A98: 0BED4CFA FF00AAFD
	v_mul_f32_dpp v247, v253, v167 quad_perm:[3,3,3,3] row_mask:0xf bank_mask:0xf// 000000024AA0: 0BEF4EFA FF00FFFD
	v_mul_f32_dpp v248, v254, v168 quad_perm:[0,0,0,0] row_mask:0xf bank_mask:0xf// 000000024AA8: 0BF150FA FF0000FE
	v_mul_f32_dpp v249, v254, v169 quad_perm:[1,1,1,1] row_mask:0xf bank_mask:0xf// 000000024AB0: 0BF352FA FF0055FE
	v_mul_f32_dpp v250, v254, v170 quad_perm:[2,2,2,2] row_mask:0xf bank_mask:0xf// 000000024AB8: 0BF554FA FF00AAFE
	v_mul_f32_dpp v251, v254, v171 quad_perm:[3,3,3,3] row_mask:0xf bank_mask:0xf// 000000024AC0: 0BF756FA FF00FFFE
	v_mul_f32_dpp v252, v255, v172 quad_perm:[0,0,0,0] row_mask:0xf bank_mask:0xf// 000000024AC8: 0BF958FA FF0000FF
	v_mul_f32_dpp v253, v255, v173 quad_perm:[1,1,1,1] row_mask:0xf bank_mask:0xf// 000000024AD0: 0BFB5AFA FF0055FF
	v_mul_f32_dpp v254, v255, v174 quad_perm:[2,2,2,2] row_mask:0xf bank_mask:0xf// 000000024AD8: 0BFD5CFA FF00AAFF
	v_mul_f32_dpp v255, v255, v175 quad_perm:[3,3,3,3] row_mask:0xf bank_mask:0xf// 000000024AE0: 0BFF5EFA FF00FFFF
	v_mov_b32_e32 v48, 0x358637bd                              // 000000024AE8: 7E6002FF 358637BD
	v_max3_f32 v48, |v240|, |v241|, v48                        // 000000024AF0: D1D30330 04C3E3F0
	v_max3_f32 v48, |v242|, |v243|, v48                        // 000000024AF8: D1D30330 04C3E7F2
	v_max3_f32 v48, |v244|, |v245|, v48                        // 000000024B00: D1D30330 04C3EBF4
	v_max3_f32 v48, |v246|, |v247|, v48                        // 000000024B08: D1D30330 04C3EFF6
	v_max3_f32 v48, |v248|, |v249|, v48                        // 000000024B10: D1D30330 04C3F3F8
	v_max3_f32 v48, |v250|, |v251|, v48                        // 000000024B18: D1D30330 04C3F7FA
	v_max3_f32 v48, |v252|, |v253|, v48                        // 000000024B20: D1D30330 04C3FBFC
	v_max3_f32 v48, |v254|, |v255|, v48                        // 000000024B28: D1D30330 04C3FFFE
	ds_write_b32 v8, v48 offset:20992                          // 000000024B30: D81A5200 00003008
	v_sub_f32_e32 v52, v14, v15                                // 000000024B38: 04681F0E
	v_cndmask_b32_e64 v52, v52, 0, s[40:41]                    // 000000024B3C: D1000034 00A10134
	v_mov_b32_e32 v14, v15                                     // 000000024B44: 7E1C030F
	v_mul_f32_e32 v52, s64, v52                                // 000000024B48: 0A686840
	v_exp_f32_e32 v52, v52                                     // 000000024B4C: 7E684134
	s_waitcnt lgkmcnt(0)                                       // 000000024B50: BF8CC07F
	s_barrier                                                  // 000000024B54: BF8A0000
	ds_read_b32 v64, v7 offset:20992                           // 000000024B58: D86C5200 40000007
	ds_read_b32 v65, v7 offset:21056                           // 000000024B60: D86C5240 41000007
	ds_read_b32 v66, v7 offset:21120                           // 000000024B68: D86C5280 42000007
	ds_read_b32 v67, v7 offset:21184                           // 000000024B70: D86C52C0 43000007
	ds_read_b32 v68, v7 offset:21248                           // 000000024B78: D86C5300 44000007
	ds_read_b32 v69, v7 offset:21312                           // 000000024B80: D86C5340 45000007
	ds_read_b32 v70, v7 offset:21376                           // 000000024B88: D86C5380 46000007
	ds_read_b32 v71, v7 offset:21440                           // 000000024B90: D86C53C0 47000007
	ds_read_b32 v72, v7 offset:21504                           // 000000024B98: D86C5400 48000007
	ds_read_b32 v73, v7 offset:21568                           // 000000024BA0: D86C5440 49000007
	ds_read_b32 v74, v7 offset:21632                           // 000000024BA8: D86C5480 4A000007
	ds_read_b32 v75, v7 offset:21696                           // 000000024BB0: D86C54C0 4B000007
	ds_read_b32 v76, v7 offset:21760                           // 000000024BB8: D86C5500 4C000007
	ds_read_b32 v77, v7 offset:21824                           // 000000024BC0: D86C5540 4D000007
	ds_read_b32 v78, v7 offset:21888                           // 000000024BC8: D86C5580 4E000007
	ds_read_b32 v79, v7 offset:21952                           // 000000024BD0: D86C55C0 4F000007
	v_mul_f32_e32 v41, v52, v41                                // 000000024BD8: 0A525334
	v_mov_b32_e32 v15, v160                                    // 000000024BDC: 7E1E03A0
	v_add_f32_e32 v15, v161, v15                               // 000000024BE0: 021E1FA1
	v_add_f32_e32 v15, v162, v15                               // 000000024BE4: 021E1FA2
	v_add_f32_e32 v15, v163, v15                               // 000000024BE8: 021E1FA3
	v_add_f32_e32 v15, v164, v15                               // 000000024BEC: 021E1FA4
	v_add_f32_e32 v15, v165, v15                               // 000000024BF0: 021E1FA5
	v_add_f32_e32 v15, v166, v15                               // 000000024BF4: 021E1FA6
	v_add_f32_e32 v15, v167, v15                               // 000000024BF8: 021E1FA7
	v_add_f32_e32 v15, v168, v15                               // 000000024BFC: 021E1FA8
	v_add_f32_e32 v15, v169, v15                               // 000000024C00: 021E1FA9
	v_add_f32_e32 v15, v170, v15                               // 000000024C04: 021E1FAA
	v_add_f32_e32 v15, v171, v15                               // 000000024C08: 021E1FAB
	v_add_f32_e32 v15, v172, v15                               // 000000024C0C: 021E1FAC
	v_add_f32_e32 v15, v173, v15                               // 000000024C10: 021E1FAD
	v_add_f32_e32 v15, v174, v15                               // 000000024C14: 021E1FAE
	v_add_f32_e32 v15, v175, v15                               // 000000024C18: 021E1FAF
	v_add_f32_e32 v41, v15, v41                                // 000000024C1C: 0252530F
	s_waitcnt lgkmcnt(0)                                       // 000000024C20: BF8CC07F
	v_max3_f32 v48, |v64|, |v65|, v48                          // 000000024C24: D1D30330 04C28340
	v_max3_f32 v48, |v66|, |v67|, v48                          // 000000024C2C: D1D30330 04C28742
	v_max3_f32 v48, |v68|, |v69|, v48                          // 000000024C34: D1D30330 04C28B44
	v_max3_f32 v48, |v70|, |v71|, v48                          // 000000024C3C: D1D30330 04C28F46
	v_max3_f32 v48, |v72|, |v73|, v48                          // 000000024C44: D1D30330 04C29348
	v_max3_f32 v48, |v74|, |v75|, v48                          // 000000024C4C: D1D30330 04C2974A
	v_max3_f32 v48, |v76|, |v77|, v48                          // 000000024C54: D1D30330 04C29B4C
	v_max3_f32 v48, |v78|, |v79|, v48                          // 000000024C5C: D1D30330 04C29F4E
	s_nop 2                                                    // 000000024C64: BF800002
	v_rcp_f32_e32 v48, v48                                     // 000000024C68: 7E604530
	s_nop 1                                                    // 000000024C6C: BF800001
	v_mul_f32_e32 v48, 0x42fe0000, v48                         // 000000024C70: 0A6060FF 42FE0000
	v_mul_f32_e32 v160, v48, v240                              // 000000024C78: 0B41E130
	v_mul_f32_e32 v161, v48, v241                              // 000000024C7C: 0B43E330
	v_mul_f32_e32 v162, v48, v242                              // 000000024C80: 0B45E530
	v_mul_f32_e32 v163, v48, v243                              // 000000024C84: 0B47E730
	v_mul_f32_e32 v164, v48, v244                              // 000000024C88: 0B49E930
	v_mul_f32_e32 v165, v48, v245                              // 000000024C8C: 0B4BEB30
	v_mul_f32_e32 v166, v48, v246                              // 000000024C90: 0B4DED30
	v_mul_f32_e32 v167, v48, v247                              // 000000024C94: 0B4FEF30
	v_mul_f32_e32 v168, v48, v248                              // 000000024C98: 0B51F130
	v_mul_f32_e32 v169, v48, v249                              // 000000024C9C: 0B53F330
	v_mul_f32_e32 v170, v48, v250                              // 000000024CA0: 0B55F530
	v_mul_f32_e32 v171, v48, v251                              // 000000024CA4: 0B57F730
	v_mul_f32_e32 v172, v48, v252                              // 000000024CA8: 0B59F930
	v_mul_f32_e32 v173, v48, v253                              // 000000024CAC: 0B5BFB30
	v_mul_f32_e32 v174, v48, v254                              // 000000024CB0: 0B5DFD30
	v_mul_f32_e32 v175, v48, v255                              // 000000024CB4: 0B5FFF30
	v_cvt_i32_f32_e32 v160, v160                               // 000000024CB8: 7F4011A0
	v_cvt_i32_f32_e32 v161, v161                               // 000000024CBC: 7F4211A1
	v_cvt_i32_f32_e32 v162, v162                               // 000000024CC0: 7F4411A2
	v_cvt_i32_f32_e32 v163, v163                               // 000000024CC4: 7F4611A3
	v_cvt_i32_f32_e32 v164, v164                               // 000000024CC8: 7F4811A4
	v_cvt_i32_f32_e32 v165, v165                               // 000000024CCC: 7F4A11A5
	v_cvt_i32_f32_e32 v166, v166                               // 000000024CD0: 7F4C11A6
	v_cvt_i32_f32_e32 v167, v167                               // 000000024CD4: 7F4E11A7
	v_cvt_i32_f32_e32 v168, v168                               // 000000024CD8: 7F5011A8
	v_cvt_i32_f32_e32 v169, v169                               // 000000024CDC: 7F5211A9
	v_cvt_i32_f32_e32 v170, v170                               // 000000024CE0: 7F5411AA
	v_cvt_i32_f32_e32 v171, v171                               // 000000024CE4: 7F5611AB
	v_cvt_i32_f32_e32 v172, v172                               // 000000024CE8: 7F5811AC
	v_cvt_i32_f32_e32 v173, v173                               // 000000024CEC: 7F5A11AD
	v_cvt_i32_f32_e32 v174, v174                               // 000000024CF0: 7F5C11AE
	v_cvt_i32_f32_e32 v175, v175                               // 000000024CF4: 7F5E11AF
	v_perm_b32 v160, v161, v160, s53                           // 000000024CF8: D1ED00A0 00D741A1
	v_perm_b32 v160, v162, v160, s54                           // 000000024D00: D1ED00A0 00DB41A2
	v_perm_b32 v160, v163, v160, s55                           // 000000024D08: D1ED00A0 00DF41A3
	v_perm_b32 v161, v165, v164, s53                           // 000000024D10: D1ED00A1 00D749A5
	v_perm_b32 v161, v166, v161, s54                           // 000000024D18: D1ED00A1 00DB43A6
	v_perm_b32 v161, v167, v161, s55                           // 000000024D20: D1ED00A1 00DF43A7
	v_perm_b32 v162, v169, v168, s53                           // 000000024D28: D1ED00A2 00D751A9
	v_perm_b32 v162, v170, v162, s54                           // 000000024D30: D1ED00A2 00DB45AA
	v_perm_b32 v162, v171, v162, s55                           // 000000024D38: D1ED00A2 00DF45AB
	v_perm_b32 v163, v173, v172, s53                           // 000000024D40: D1ED00A3 00D759AD
	v_perm_b32 v163, v174, v163, s54                           // 000000024D48: D1ED00A3 00DB47AE
	v_perm_b32 v163, v175, v163, s55                           // 000000024D50: D1ED00A3 00DF47AF
	ds_write_b32 v10, v160 offset:37376                        // 000000024D58: D81A9200 0000A00A
	ds_write_b32 v10, v161 offset:38400                        // 000000024D60: D81A9600 0000A10A
	ds_write_b32 v10, v162 offset:39424                        // 000000024D68: D81A9A00 0000A20A
	ds_write_b32 v10, v163 offset:40448                        // 000000024D70: D81A9E00 0000A30A
	v_add_f32_e32 v232, v232, v200                             // 000000024D78: 03D191E8
	v_add_f32_e32 v233, v233, v201                             // 000000024D7C: 03D393E9
	v_add_f32_e32 v234, v234, v202                             // 000000024D80: 03D595EA
	v_add_f32_e32 v235, v235, v203                             // 000000024D84: 03D797EB
	v_add_f32_e32 v236, v236, v204                             // 000000024D88: 03D999EC
	v_add_f32_e32 v237, v237, v205                             // 000000024D8C: 03DB9BED
	v_add_f32_e32 v238, v238, v206                             // 000000024D90: 03DD9DEE
	v_add_f32_e32 v239, v239, v207                             // 000000024D94: 03DF9FEF
	v_rcp_f32_e32 v47, v48                                     // 000000024D98: 7E5E4530
	s_waitcnt lgkmcnt(0)                                       // 000000024D9C: BF8CC07F
	s_barrier                                                  // 000000024DA0: BF8A0000
	ds_read_b64 v[160:161], v9 offset:37376                    // 000000024DA4: D8EC9200 A0000009
	ds_read_b64 v[162:163], v9 offset:37504                    // 000000024DAC: D8EC9280 A2000009
	ds_read_b64 v[164:165], v9 offset:38400                    // 000000024DB4: D8EC9600 A4000009
	ds_read_b64 v[166:167], v9 offset:38528                    // 000000024DBC: D8EC9680 A6000009
	ds_read_b64 v[168:169], v9 offset:39424                    // 000000024DC4: D8EC9A00 A8000009
	ds_read_b64 v[170:171], v9 offset:39552                    // 000000024DCC: D8EC9A80 AA000009
	ds_read_b64 v[172:173], v9 offset:40448                    // 000000024DD4: D8EC9E00 AC000009
	ds_read_b64 v[174:175], v9 offset:40576                    // 000000024DDC: D8EC9E80 AE000009
	s_waitcnt vmcnt(15)                                        // 000000024DE4: BF8C0F7F
	v_mfma_i32_16x16x32_i8 v[176:179], a[96:97], v[112:113], 0 // 000000024DE8: D3D700B0 0A02E160
	v_mfma_i32_16x16x32_i8 v[176:179], a[98:99], v[114:115], v[176:179]// 000000024DF0: D3D700B0 0EC2E562
	buffer_load_dwordx4 a[80:83], v30, s[20:23], 0 offen offset:1024// 000000024DF8: E05C1400 8085501E
	v_mfma_i32_16x16x32_i8 v[176:179], a[100:101], v[116:117], v[176:179]// 000000024E00: D3D700B0 0EC2E964
	v_mfma_i32_16x16x32_i8 v[176:179], a[102:103], v[118:119], v[176:179]// 000000024E08: D3D700B0 0EC2ED66
	v_mfma_i32_16x16x32_i8 v[176:179], a[104:105], v[120:121], v[176:179]// 000000024E10: D3D700B0 0EC2F168
	v_mfma_i32_16x16x32_i8 v[176:179], a[106:107], v[122:123], v[176:179]// 000000024E18: D3D700B0 0EC2F56A
	buffer_load_dwordx4 a[84:87], v31, s[20:23], 0 offen offset:1024// 000000024E20: E05C1400 8085541F
	v_mfma_i32_16x16x32_i8 v[176:179], a[108:109], v[124:125], v[176:179]// 000000024E28: D3D700B0 0EC2F96C
	v_mfma_i32_16x16x32_i8 v[176:179], a[110:111], v[126:127], v[176:179]// 000000024E30: D3D700B0 0EC2FD6E
	v_mfma_i32_16x16x32_i8 v[180:183], a[112:113], v[112:113], 0// 000000024E38: D3D700B4 0A02E170
	v_mfma_i32_16x16x32_i8 v[180:183], a[114:115], v[114:115], v[180:183]// 000000024E40: D3D700B4 0ED2E572
	buffer_load_dwordx4 a[88:91], v32, s[20:23], 0 offen offset:1024// 000000024E48: E05C1400 80855820
	v_mfma_i32_16x16x32_i8 v[180:183], a[116:117], v[116:117], v[180:183]// 000000024E50: D3D700B4 0ED2E974
	v_mfma_i32_16x16x32_i8 v[180:183], a[118:119], v[118:119], v[180:183]// 000000024E58: D3D700B4 0ED2ED76
	v_mfma_i32_16x16x32_i8 v[180:183], a[120:121], v[120:121], v[180:183]// 000000024E60: D3D700B4 0ED2F178
	v_mfma_i32_16x16x32_i8 v[180:183], a[122:123], v[122:123], v[180:183]// 000000024E68: D3D700B4 0ED2F57A
	buffer_load_dwordx4 a[92:95], v33, s[20:23], 0 offen offset:1024// 000000024E70: E05C1400 80855C21
	v_mfma_i32_16x16x32_i8 v[180:183], a[124:125], v[124:125], v[180:183]// 000000024E78: D3D700B4 0ED2F97C
	s_lshr_b32 s57, s70, 4                                     // 000000024E80: 8F398446
	s_add_u32 s57, 48, s57                                     // 000000024E84: 803939B0
	v_mfma_i32_16x16x32_i8 v[180:183], a[126:127], v[126:127], v[180:183]// 000000024E88: D3D700B4 0ED2FD7E
	s_cmp_ge_u32 s57, s73                                      // 000000024E90: BF094939
	s_cselect_b32 s56, 0, s56                                  // 000000024E94: 85383880
	v_mfma_i32_16x16x32_i8 v[184:187], a[96:97], v[128:129], 0 // 000000024E98: D3D700B8 0A030160
	v_mfma_i32_16x16x32_i8 v[184:187], a[98:99], v[130:131], v[184:187]// 000000024EA0: D3D700B8 0EE30562
	v_mfma_i32_16x16x32_i8 v[184:187], a[100:101], v[132:133], v[184:187]// 000000024EA8: D3D700B8 0EE30964
	v_mfma_i32_16x16x32_i8 v[184:187], a[102:103], v[134:135], v[184:187]// 000000024EB0: D3D700B8 0EE30D66
	v_mfma_i32_16x16x32_i8 v[184:187], a[104:105], v[136:137], v[184:187]// 000000024EB8: D3D700B8 0EE31168
	v_mfma_i32_16x16x32_i8 v[184:187], a[106:107], v[138:139], v[184:187]// 000000024EC0: D3D700B8 0EE3156A
	v_mfma_i32_16x16x32_i8 v[184:187], a[108:109], v[140:141], v[184:187]// 000000024EC8: D3D700B8 0EE3196C
	v_mfma_i32_16x16x32_i8 v[184:187], a[110:111], v[142:143], v[184:187]// 000000024ED0: D3D700B8 0EE31D6E
	v_mfma_i32_16x16x32_i8 v[188:191], a[112:113], v[128:129], 0// 000000024ED8: D3D700BC 0A030170
	v_mfma_i32_16x16x32_i8 v[188:191], a[114:115], v[130:131], v[188:191]// 000000024EE0: D3D700BC 0EF30572
	v_mfma_i32_16x16x32_i8 v[188:191], a[116:117], v[132:133], v[188:191]// 000000024EE8: D3D700BC 0EF30974
	v_mfma_i32_16x16x32_i8 v[188:191], a[118:119], v[134:135], v[188:191]// 000000024EF0: D3D700BC 0EF30D76
	v_mfma_i32_16x16x32_i8 v[188:191], a[120:121], v[136:137], v[188:191]// 000000024EF8: D3D700BC 0EF31178
	v_mfma_i32_16x16x32_i8 v[188:191], a[122:123], v[138:139], v[188:191]// 000000024F00: D3D700BC 0EF3157A
	v_mfma_i32_16x16x32_i8 v[188:191], a[124:125], v[140:141], v[188:191]// 000000024F08: D3D700BC 0EF3197C
	v_mfma_i32_16x16x32_i8 v[188:191], a[126:127], v[142:143], v[188:191]// 000000024F10: D3D700BC 0EF31D7E
	v_mfma_i32_16x16x32_i8 v[192:195], a[96:97], v[144:145], 0 // 000000024F18: D3D700C0 0A032160
	v_mfma_i32_16x16x32_i8 v[192:195], a[98:99], v[146:147], v[192:195]// 000000024F20: D3D700C0 0F032562
	v_mfma_i32_16x16x32_i8 v[192:195], a[100:101], v[148:149], v[192:195]// 000000024F28: D3D700C0 0F032964
	v_mfma_i32_16x16x32_i8 v[192:195], a[102:103], v[150:151], v[192:195]// 000000024F30: D3D700C0 0F032D66
	v_mfma_i32_16x16x32_i8 v[192:195], a[104:105], v[152:153], v[192:195]// 000000024F38: D3D700C0 0F033168
	v_mfma_i32_16x16x32_i8 v[192:195], a[106:107], v[154:155], v[192:195]// 000000024F40: D3D700C0 0F03356A
	v_mfma_i32_16x16x32_i8 v[192:195], a[108:109], v[156:157], v[192:195]// 000000024F48: D3D700C0 0F03396C
	v_mfma_i32_16x16x32_i8 v[192:195], a[110:111], v[158:159], v[192:195]// 000000024F50: D3D700C0 0F033D6E
	v_mfma_i32_16x16x32_i8 v[196:199], a[112:113], v[144:145], 0// 000000024F58: D3D700C4 0A032170
	v_mfma_i32_16x16x32_i8 v[196:199], a[114:115], v[146:147], v[196:199]// 000000024F60: D3D700C4 0F132572
	v_mfma_i32_16x16x32_i8 v[196:199], a[116:117], v[148:149], v[196:199]// 000000024F68: D3D700C4 0F132974
	v_mfma_i32_16x16x32_i8 v[196:199], a[118:119], v[150:151], v[196:199]// 000000024F70: D3D700C4 0F132D76
	v_mfma_i32_16x16x32_i8 v[196:199], a[120:121], v[152:153], v[196:199]// 000000024F78: D3D700C4 0F133178
	v_mfma_i32_16x16x32_i8 v[196:199], a[122:123], v[154:155], v[196:199]// 000000024F80: D3D700C4 0F13357A
	v_mfma_i32_16x16x32_i8 v[196:199], a[124:125], v[156:157], v[196:199]// 000000024F88: D3D700C4 0F13397C
	v_mfma_i32_16x16x32_i8 v[196:199], a[126:127], v[158:159], v[196:199]// 000000024F90: D3D700C4 0F133D7E
	v_mfma_i32_16x16x32_i8 v[200:203], a[96:97], v[160:161], 0 // 000000024F98: D3D700C8 0A034160
	v_mfma_i32_16x16x32_i8 v[200:203], a[98:99], v[162:163], v[200:203]// 000000024FA0: D3D700C8 0F234562
	v_mfma_i32_16x16x32_i8 v[200:203], a[100:101], v[164:165], v[200:203]// 000000024FA8: D3D700C8 0F234964
	v_mfma_i32_16x16x32_i8 v[200:203], a[102:103], v[166:167], v[200:203]// 000000024FB0: D3D700C8 0F234D66
	v_mfma_i32_16x16x32_i8 v[200:203], a[104:105], v[168:169], v[200:203]// 000000024FB8: D3D700C8 0F235168
	v_mfma_i32_16x16x32_i8 v[200:203], a[106:107], v[170:171], v[200:203]// 000000024FC0: D3D700C8 0F23556A
	v_mfma_i32_16x16x32_i8 v[200:203], a[108:109], v[172:173], v[200:203]// 000000024FC8: D3D700C8 0F23596C
	v_mfma_i32_16x16x32_i8 v[200:203], a[110:111], v[174:175], v[200:203]// 000000024FD0: D3D700C8 0F235D6E
	v_mfma_i32_16x16x32_i8 v[204:207], a[112:113], v[160:161], 0// 000000024FD8: D3D700CC 0A034170
	v_mfma_i32_16x16x32_i8 v[204:207], a[114:115], v[162:163], v[204:207]// 000000024FE0: D3D700CC 0F334572
	v_mfma_i32_16x16x32_i8 v[204:207], a[116:117], v[164:165], v[204:207]// 000000024FE8: D3D700CC 0F334974
	v_mfma_i32_16x16x32_i8 v[204:207], a[118:119], v[166:167], v[204:207]// 000000024FF0: D3D700CC 0F334D76
	v_mfma_i32_16x16x32_i8 v[204:207], a[120:121], v[168:169], v[204:207]// 000000024FF8: D3D700CC 0F335178
	v_mfma_i32_16x16x32_i8 v[204:207], a[122:123], v[170:171], v[204:207]// 000000025000: D3D700CC 0F33557A
	v_mfma_i32_16x16x32_i8 v[204:207], a[124:125], v[172:173], v[204:207]// 000000025008: D3D700CC 0F33597C
	v_mfma_i32_16x16x32_i8 v[204:207], a[126:127], v[174:175], v[204:207]// 000000025010: D3D700CC 0F335D7E
	v_add_u32_e32 v1, s56, v1                                  // 000000025018: 68020238
	s_addk_i32 s70, 0x100                                      // 00000002501C: B7460100
	s_cmp_lt_i32 s70, s71                                      // 000000025020: BF044746
	s_cbranch_scc0 label_8B8B                                  // 000000025024: BF840001
	s_branch label_7614                                        // 000000025028: BF82EA89

000000000002502c <label_8B8B>:
	s_nop 0                                                    // 00000002502C: BF800000
	s_nop 0                                                    // 000000025030: BF800000
	s_branch label_A105                                        // 000000025034: BF821577

0000000000025038 <label_8B8E>:
	s_waitcnt vmcnt(8) lgkmcnt(0)                              // 000000025038: BF8C0078
	v_mul_u32_u24_dpp v64, v17, v54 row_newbcast:0 row_mask:0xf bank_mask:0xf// 00000002503C: 10806CFA FF015011
	v_mul_u32_u24_dpp v65, v17, v54 row_newbcast:4 row_mask:0xf bank_mask:0xf// 000000025044: 10826CFA FF015411
	v_mul_u32_u24_dpp v66, v17, v54 row_newbcast:8 row_mask:0xf bank_mask:0xf// 00000002504C: 10846CFA FF015811
	v_mul_u32_u24_dpp v67, v17, v54 row_newbcast:12 row_mask:0xf bank_mask:0xf// 000000025054: 10866CFA FF015C11
	v_add_u32_e32 v26, v64, v5                                 // 00000002505C: 68340B40
	v_add_u32_e32 v27, v65, v5                                 // 000000025060: 68360B41
	v_add_u32_e32 v28, v66, v5                                 // 000000025064: 68380B42
	v_add_u32_e32 v29, v67, v5                                 // 000000025068: 683A0B43
	v_mul_u32_u24_dpp v64, v17, v63 quad_perm:[0,0,0,0] row_mask:0xf bank_mask:0xf// 00000002506C: 10807EFA FF000011
	v_add_u32_e32 v3, v64, v59                                 // 000000025074: 68067740
	v_mul_u32_u24_dpp v64, v17, v63 quad_perm:[0,0,0,0] row_mask:0xf bank_mask:0xf// 000000025078: 10807EFA FF000011
	v_add_u32_e32 v56, v64, v60                                // 000000025080: 68707940
	v_mfma_i32_16x16x32_i8 v[112:115], a[0:1], v[80:81], 0     // 000000025084: D3D70070 0A02A100
	buffer_load_dwordx4 a[32:35], v26, s[16:19], 0 offen       // 00000002508C: E05C1000 8084201A
	v_mfma_i32_16x16x32_i8 v[112:115], a[2:3], v[82:83], v[112:115]// 000000025094: D3D70070 0DC2A502
	v_mfma_i32_16x16x32_i8 v[112:115], a[4:5], v[84:85], v[112:115]// 00000002509C: D3D70070 0DC2A904
	buffer_load_dword v16, v1, s[24:27], 0 offen               // 0000000250A4: E0501000 80061001
	v_mfma_i32_16x16x32_i8 v[112:115], a[6:7], v[86:87], v[112:115]// 0000000250AC: D3D70070 0DC2AD06
	v_mfma_i32_16x16x32_i8 v[116:119], a[8:9], v[80:81], 0     // 0000000250B4: D3D70074 0A02A108
	buffer_load_dwordx4 a[36:39], v26, s[16:19], 0 offen offset:1024// 0000000250BC: E05C1400 8084241A
	v_mfma_i32_16x16x32_i8 v[116:119], a[10:11], v[82:83], v[116:119]// 0000000250C4: D3D70074 0DD2A50A
	v_mfma_i32_16x16x32_i8 v[116:119], a[12:13], v[84:85], v[116:119]// 0000000250CC: D3D70074 0DD2A90C
	v_mfma_i32_16x16x32_i8 v[116:119], a[14:15], v[86:87], v[116:119]// 0000000250D4: D3D70074 0DD2AD0E
	v_mfma_i32_16x16x32_i8 v[120:123], a[16:17], v[80:81], 0   // 0000000250DC: D3D70078 0A02A110
	buffer_load_dwordx4 a[40:43], v27, s[16:19], 0 offen       // 0000000250E4: E05C1000 8084281B
	v_mfma_i32_16x16x32_i8 v[120:123], a[18:19], v[82:83], v[120:123]// 0000000250EC: D3D70078 0DE2A512
	v_mfma_i32_16x16x32_i8 v[120:123], a[20:21], v[84:85], v[120:123]// 0000000250F4: D3D70078 0DE2A914
	v_mfma_i32_16x16x32_i8 v[120:123], a[22:23], v[86:87], v[120:123]// 0000000250FC: D3D70078 0DE2AD16
	v_mfma_i32_16x16x32_i8 v[124:127], a[24:25], v[80:81], 0   // 000000025104: D3D7007C 0A02A118
	buffer_load_dwordx4 a[44:47], v27, s[16:19], 0 offen offset:1024// 00000002510C: E05C1400 80842C1B
	v_mfma_i32_16x16x32_i8 v[124:127], a[26:27], v[82:83], v[124:127]// 000000025114: D3D7007C 0DF2A51A
	v_mfma_i32_16x16x32_i8 v[124:127], a[28:29], v[84:85], v[124:127]// 00000002511C: D3D7007C 0DF2A91C
	v_mfma_i32_16x16x32_i8 v[124:127], a[30:31], v[86:87], v[124:127]// 000000025124: D3D7007C 0DF2AD1E
	v_mfma_i32_16x16x32_i8 v[128:131], a[0:1], v[88:89], 0     // 00000002512C: D3D70080 0A02B100
	v_mfma_i32_16x16x32_i8 v[128:131], a[2:3], v[90:91], v[128:131]// 000000025134: D3D70080 0E02B502
	v_mfma_i32_16x16x32_i8 v[128:131], a[4:5], v[92:93], v[128:131]// 00000002513C: D3D70080 0E02B904
	v_mfma_i32_16x16x32_i8 v[128:131], a[6:7], v[94:95], v[128:131]// 000000025144: D3D70080 0E02BD06
	v_mfma_i32_16x16x32_i8 v[132:135], a[8:9], v[88:89], 0     // 00000002514C: D3D70084 0A02B108
	v_mfma_i32_16x16x32_i8 v[132:135], a[10:11], v[90:91], v[132:135]// 000000025154: D3D70084 0E12B50A
	v_mfma_i32_16x16x32_i8 v[132:135], a[12:13], v[92:93], v[132:135]// 00000002515C: D3D70084 0E12B90C
	v_mfma_i32_16x16x32_i8 v[132:135], a[14:15], v[94:95], v[132:135]// 000000025164: D3D70084 0E12BD0E
	v_mfma_i32_16x16x32_i8 v[136:139], a[16:17], v[88:89], 0   // 00000002516C: D3D70088 0A02B110
	v_mfma_i32_16x16x32_i8 v[136:139], a[18:19], v[90:91], v[136:139]// 000000025174: D3D70088 0E22B512
	v_mfma_i32_16x16x32_i8 v[136:139], a[20:21], v[92:93], v[136:139]// 00000002517C: D3D70088 0E22B914
	v_mfma_i32_16x16x32_i8 v[136:139], a[22:23], v[94:95], v[136:139]// 000000025184: D3D70088 0E22BD16
	v_mfma_i32_16x16x32_i8 v[140:143], a[24:25], v[88:89], 0   // 00000002518C: D3D7008C 0A02B118
	v_mfma_i32_16x16x32_i8 v[140:143], a[26:27], v[90:91], v[140:143]// 000000025194: D3D7008C 0E32B51A
	v_mfma_i32_16x16x32_i8 v[140:143], a[28:29], v[92:93], v[140:143]// 00000002519C: D3D7008C 0E32B91C
	v_mfma_i32_16x16x32_i8 v[140:143], a[30:31], v[94:95], v[140:143]// 0000000251A4: D3D7008C 0E32BD1E
	v_mfma_i32_16x16x32_i8 v[144:147], a[0:1], v[96:97], 0     // 0000000251AC: D3D70090 0A02C100
	v_mfma_i32_16x16x32_i8 v[144:147], a[2:3], v[98:99], v[144:147]// 0000000251B4: D3D70090 0E42C502
	v_mfma_i32_16x16x32_i8 v[144:147], a[4:5], v[100:101], v[144:147]// 0000000251BC: D3D70090 0E42C904
	v_mfma_i32_16x16x32_i8 v[144:147], a[6:7], v[102:103], v[144:147]// 0000000251C4: D3D70090 0E42CD06
	v_mfma_i32_16x16x32_i8 v[148:151], a[8:9], v[96:97], 0     // 0000000251CC: D3D70094 0A02C108
	v_mfma_i32_16x16x32_i8 v[148:151], a[10:11], v[98:99], v[148:151]// 0000000251D4: D3D70094 0E52C50A
	v_mfma_i32_16x16x32_i8 v[148:151], a[12:13], v[100:101], v[148:151]// 0000000251DC: D3D70094 0E52C90C
	v_mfma_i32_16x16x32_i8 v[148:151], a[14:15], v[102:103], v[148:151]// 0000000251E4: D3D70094 0E52CD0E
	v_mfma_i32_16x16x32_i8 v[152:155], a[16:17], v[96:97], 0   // 0000000251EC: D3D70098 0A02C110
	v_mfma_i32_16x16x32_i8 v[152:155], a[18:19], v[98:99], v[152:155]// 0000000251F4: D3D70098 0E62C512
	v_mfma_i32_16x16x32_i8 v[152:155], a[20:21], v[100:101], v[152:155]// 0000000251FC: D3D70098 0E62C914
	v_mfma_i32_16x16x32_i8 v[152:155], a[22:23], v[102:103], v[152:155]// 000000025204: D3D70098 0E62CD16
	v_mfma_i32_16x16x32_i8 v[156:159], a[24:25], v[96:97], 0   // 00000002520C: D3D7009C 0A02C118
	v_mfma_i32_16x16x32_i8 v[156:159], a[26:27], v[98:99], v[156:159]// 000000025214: D3D7009C 0E72C51A
	v_mfma_i32_16x16x32_i8 v[156:159], a[28:29], v[100:101], v[156:159]// 00000002521C: D3D7009C 0E72C91C
	v_mfma_i32_16x16x32_i8 v[156:159], a[30:31], v[102:103], v[156:159]// 000000025224: D3D7009C 0E72CD1E
	v_mfma_i32_16x16x32_i8 v[160:163], a[0:1], v[104:105], 0   // 00000002522C: D3D700A0 0A02D100
	v_mfma_i32_16x16x32_i8 v[160:163], a[2:3], v[106:107], v[160:163]// 000000025234: D3D700A0 0E82D502
	v_mfma_i32_16x16x32_i8 v[160:163], a[4:5], v[108:109], v[160:163]// 00000002523C: D3D700A0 0E82D904
	v_mfma_i32_16x16x32_i8 v[160:163], a[6:7], v[110:111], v[160:163]// 000000025244: D3D700A0 0E82DD06
	v_mfma_i32_16x16x32_i8 v[164:167], a[8:9], v[104:105], 0   // 00000002524C: D3D700A4 0A02D108
	v_mfma_i32_16x16x32_i8 v[164:167], a[10:11], v[106:107], v[164:167]// 000000025254: D3D700A4 0E92D50A
	v_mfma_i32_16x16x32_i8 v[164:167], a[12:13], v[108:109], v[164:167]// 00000002525C: D3D700A4 0E92D90C
	v_mfma_i32_16x16x32_i8 v[164:167], a[14:15], v[110:111], v[164:167]// 000000025264: D3D700A4 0E92DD0E
	v_mfma_i32_16x16x32_i8 v[168:171], a[16:17], v[104:105], 0 // 00000002526C: D3D700A8 0A02D110
	v_mfma_i32_16x16x32_i8 v[168:171], a[18:19], v[106:107], v[168:171]// 000000025274: D3D700A8 0EA2D512
	v_mfma_i32_16x16x32_i8 v[168:171], a[20:21], v[108:109], v[168:171]// 00000002527C: D3D700A8 0EA2D914
	v_mfma_i32_16x16x32_i8 v[168:171], a[22:23], v[110:111], v[168:171]// 000000025284: D3D700A8 0EA2DD16
	v_mfma_i32_16x16x32_i8 v[172:175], a[24:25], v[104:105], 0 // 00000002528C: D3D700AC 0A02D118
	v_mfma_i32_16x16x32_i8 v[172:175], a[26:27], v[106:107], v[172:175]// 000000025294: D3D700AC 0EB2D51A
	v_mfma_i32_16x16x32_i8 v[172:175], a[28:29], v[108:109], v[172:175]// 00000002529C: D3D700AC 0EB2D91C
	v_mfma_i32_16x16x32_i8 v[172:175], a[30:31], v[110:111], v[172:175]// 0000000252A4: D3D700AC 0EB2DD1E
	buffer_load_dword v43, v3, s[32:35], 0 offen               // 0000000252AC: E0501000 80082B03
	v_mov_b32_dpp v64, v42 row_shr:4 row_mask:0xf bank_mask:0xf// 0000000252B4: 7E8002FA FF01142A
	v_mov_b32_dpp v65, v42 row_shl:4 row_mask:0xf bank_mask:0xf// 0000000252BC: 7E8202FA FF01042A
	v_cndmask_b32_e64 v248, v42, v64, s[44:45]                 // 0000000252C4: D10000F8 00B2812A
	v_cndmask_b32_e64 v249, v65, v42, s[44:45]                 // 0000000252CC: D10000F9 00B25541
	v_mov_b32_dpp v64, v248 row_shr:8 row_mask:0xf bank_mask:0xf// 0000000252D4: 7E8002FA FF0118F8
	v_mov_b32_dpp v65, v248 row_shl:8 row_mask:0xf bank_mask:0xf// 0000000252DC: 7E8202FA FF0108F8
	v_mov_b32_dpp v66, v249 row_shr:8 row_mask:0xf bank_mask:0xf// 0000000252E4: 7E8402FA FF0118F9
	v_mov_b32_dpp v67, v249 row_shl:8 row_mask:0xf bank_mask:0xf// 0000000252EC: 7E8602FA FF0108F9
	v_mov_b32_e32 v68, v248                                    // 0000000252F4: 7E8803F8
	v_mov_b32_e32 v69, v249                                    // 0000000252F8: 7E8A03F9
	v_cndmask_b32_e64 v248, v68, v64, s[42:43]                 // 0000000252FC: D10000F8 00AA8144
	v_cndmask_b32_e64 v250, v68, v65, s[78:79]                 // 000000025304: D10000FA 013A8344
	v_cndmask_b32_e64 v249, v69, v66, s[42:43]                 // 00000002530C: D10000F9 00AA8545
	v_cndmask_b32_e64 v251, v69, v67, s[78:79]                 // 000000025314: D10000FB 013A8745
	v_mov_b32_dpp v64, v57 row_shr:4 row_mask:0xf bank_mask:0xf// 00000002531C: 7E8002FA FF011439
	v_mov_b32_dpp v65, v57 row_shl:4 row_mask:0xf bank_mask:0xf// 000000025324: 7E8202FA FF010439
	v_cndmask_b32_e64 v252, v57, v64, s[44:45]                 // 00000002532C: D10000FC 00B28139
	v_cndmask_b32_e64 v253, v65, v57, s[44:45]                 // 000000025334: D10000FD 00B27341
	v_mov_b32_dpp v64, v252 row_shr:8 row_mask:0xf bank_mask:0xf// 00000002533C: 7E8002FA FF0118FC
	v_mov_b32_dpp v65, v252 row_shl:8 row_mask:0xf bank_mask:0xf// 000000025344: 7E8202FA FF0108FC
	v_mov_b32_dpp v66, v253 row_shr:8 row_mask:0xf bank_mask:0xf// 00000002534C: 7E8402FA FF0118FD
	v_mov_b32_dpp v67, v253 row_shl:8 row_mask:0xf bank_mask:0xf// 000000025354: 7E8602FA FF0108FD
	v_mov_b32_e32 v68, v252                                    // 00000002535C: 7E8803FC
	v_mov_b32_e32 v69, v253                                    // 000000025360: 7E8A03FD
	v_cndmask_b32_e64 v252, v68, v64, s[42:43]                 // 000000025364: D10000FC 00AA8144
	v_cndmask_b32_e64 v254, v68, v65, s[78:79]                 // 00000002536C: D10000FE 013A8344
	v_cndmask_b32_e64 v253, v69, v66, s[42:43]                 // 000000025374: D10000FD 00AA8545
	v_cndmask_b32_e64 v255, v69, v67, s[78:79]                 // 00000002537C: D10000FF 013A8745
	buffer_load_dword v58, v56, s[36:39], 0 offen              // 000000025384: E0501000 80093A38
	v_cvt_f32_i32_e32 v112, v112                               // 00000002538C: 7EE00B70
	v_cvt_f32_i32_e32 v113, v113                               // 000000025390: 7EE20B71
	v_cvt_f32_i32_e32 v114, v114                               // 000000025394: 7EE40B72
	v_cvt_f32_i32_e32 v115, v115                               // 000000025398: 7EE60B73
	v_cvt_f32_i32_e32 v116, v116                               // 00000002539C: 7EE80B74
	v_cvt_f32_i32_e32 v117, v117                               // 0000000253A0: 7EEA0B75
	v_cvt_f32_i32_e32 v118, v118                               // 0000000253A4: 7EEC0B76
	v_cvt_f32_i32_e32 v119, v119                               // 0000000253A8: 7EEE0B77
	v_cvt_f32_i32_e32 v120, v120                               // 0000000253AC: 7EF00B78
	v_cvt_f32_i32_e32 v121, v121                               // 0000000253B0: 7EF20B79
	v_cvt_f32_i32_e32 v122, v122                               // 0000000253B4: 7EF40B7A
	v_cvt_f32_i32_e32 v123, v123                               // 0000000253B8: 7EF60B7B
	v_cvt_f32_i32_e32 v124, v124                               // 0000000253BC: 7EF80B7C
	v_cvt_f32_i32_e32 v125, v125                               // 0000000253C0: 7EFA0B7D
	v_cvt_f32_i32_e32 v126, v126                               // 0000000253C4: 7EFC0B7E
	v_cvt_f32_i32_e32 v127, v127                               // 0000000253C8: 7EFE0B7F
	v_mul_f32_e32 v112, v18, v112                              // 0000000253CC: 0AE0E112
	v_mul_f32_e32 v113, v18, v113                              // 0000000253D0: 0AE2E312
	v_mul_f32_e32 v114, v18, v114                              // 0000000253D4: 0AE4E512
	v_mul_f32_e32 v115, v18, v115                              // 0000000253D8: 0AE6E712
	v_mul_f32_e32 v116, v18, v116                              // 0000000253DC: 0AE8E912
	v_mul_f32_e32 v117, v18, v117                              // 0000000253E0: 0AEAEB12
	v_mul_f32_e32 v118, v18, v118                              // 0000000253E4: 0AECED12
	v_mul_f32_e32 v119, v18, v119                              // 0000000253E8: 0AEEEF12
	v_mul_f32_e32 v120, v18, v120                              // 0000000253EC: 0AF0F112
	v_mul_f32_e32 v121, v18, v121                              // 0000000253F0: 0AF2F312
	v_mul_f32_e32 v122, v18, v122                              // 0000000253F4: 0AF4F512
	v_mul_f32_e32 v123, v18, v123                              // 0000000253F8: 0AF6F712
	v_mul_f32_e32 v124, v18, v124                              // 0000000253FC: 0AF8F912
	v_mul_f32_e32 v125, v18, v125                              // 000000025400: 0AFAFB12
	v_mul_f32_e32 v126, v18, v126                              // 000000025404: 0AFCFD12
	v_mul_f32_e32 v127, v18, v127                              // 000000025408: 0AFEFF12
	buffer_load_dwordx4 a[48:51], v28, s[16:19], 0 offen       // 00000002540C: E05C1000 8084301C
	v_mul_f32_dpp v112, v248, v112 quad_perm:[0,0,0,0] row_mask:0xf bank_mask:0xf// 000000025414: 0AE0E0FA FF0000F8
	v_mul_f32_dpp v113, v248, v113 quad_perm:[1,1,1,1] row_mask:0xf bank_mask:0xf// 00000002541C: 0AE2E2FA FF0055F8
	v_mul_f32_dpp v114, v248, v114 quad_perm:[2,2,2,2] row_mask:0xf bank_mask:0xf// 000000025424: 0AE4E4FA FF00AAF8
	v_mul_f32_dpp v115, v248, v115 quad_perm:[3,3,3,3] row_mask:0xf bank_mask:0xf// 00000002542C: 0AE6E6FA FF00FFF8
	v_mul_f32_dpp v116, v249, v116 quad_perm:[0,0,0,0] row_mask:0xf bank_mask:0xf// 000000025434: 0AE8E8FA FF0000F9
	v_mul_f32_dpp v117, v249, v117 quad_perm:[1,1,1,1] row_mask:0xf bank_mask:0xf// 00000002543C: 0AEAEAFA FF0055F9
	v_mul_f32_dpp v118, v249, v118 quad_perm:[2,2,2,2] row_mask:0xf bank_mask:0xf// 000000025444: 0AECECFA FF00AAF9
	v_mul_f32_dpp v119, v249, v119 quad_perm:[3,3,3,3] row_mask:0xf bank_mask:0xf// 00000002544C: 0AEEEEFA FF00FFF9
	v_mul_f32_dpp v120, v250, v120 quad_perm:[0,0,0,0] row_mask:0xf bank_mask:0xf// 000000025454: 0AF0F0FA FF0000FA
	v_mul_f32_dpp v121, v250, v121 quad_perm:[1,1,1,1] row_mask:0xf bank_mask:0xf// 00000002545C: 0AF2F2FA FF0055FA
	v_mul_f32_dpp v122, v250, v122 quad_perm:[2,2,2,2] row_mask:0xf bank_mask:0xf// 000000025464: 0AF4F4FA FF00AAFA
	v_mul_f32_dpp v123, v250, v123 quad_perm:[3,3,3,3] row_mask:0xf bank_mask:0xf// 00000002546C: 0AF6F6FA FF00FFFA
	v_mul_f32_dpp v124, v251, v124 quad_perm:[0,0,0,0] row_mask:0xf bank_mask:0xf// 000000025474: 0AF8F8FA FF0000FB
	v_mul_f32_dpp v125, v251, v125 quad_perm:[1,1,1,1] row_mask:0xf bank_mask:0xf// 00000002547C: 0AFAFAFA FF0055FB
	v_mul_f32_dpp v126, v251, v126 quad_perm:[2,2,2,2] row_mask:0xf bank_mask:0xf// 000000025484: 0AFCFCFA FF00AAFB
	v_mul_f32_dpp v127, v251, v127 quad_perm:[3,3,3,3] row_mask:0xf bank_mask:0xf// 00000002548C: 0AFEFEFA FF00FFFB
	buffer_load_dwordx4 a[52:55], v28, s[16:19], 0 offen offset:1024// 000000025494: E05C1400 8084341C
	s_cmp_le_i32 s90, s89                                      // 00000002549C: BF05595A
	s_cbranch_scc1 label_8D1A                                  // 0000000254A0: BF850071
	v_mov_b32_e32 v66, 0xff800000                              // 0000000254A4: 7E8402FF FF800000
	s_mov_b32 s60, s90                                         // 0000000254AC: BEBC005A
	s_add_u32 s61, s89, 0xff                                   // 0000000254B0: 803DFF59 000000FF
	v_mov_b32_e32 v64, s61                                     // 0000000254B8: 7E80023D
	v_lshrrev_b32_e32 v240, 4, v0                              // 0000000254BC: 21E00084
	v_mul_i32_i24_e32 v240, 4, v240                            // 0000000254C0: 0DE1E084
	v_add_u32_e32 v240, s60, v240                              // 0000000254C4: 69E1E03C
	s_mov_b32 s61, 0                                           // 0000000254C8: BEBD0080
	s_mul_i32 s60, 16, s7                                      // 0000000254CC: 923C0790
	v_sub_u32_e64 v240, v240, s61                              // 0000000254D0: D13500F0 00007BF0
	v_add_u32_e32 v240, s60, v240                              // 0000000254D8: 69E1E03C
	v_add_u32_e32 v241, 1, v240                                // 0000000254DC: 69E3E081
	v_add_u32_e32 v242, 2, v240                                // 0000000254E0: 69E5E082
	v_add_u32_e32 v243, 3, v240                                // 0000000254E4: 69E7E083
	v_cmp_le_u32_e64 s[40:41], v240, v64                       // 0000000254E8: D0CB0028 000281F0
	v_add_u32_e32 v240, 64, v240                               // 0000000254F0: 69E1E0C0
	s_nop 0                                                    // 0000000254F4: BF800000
	v_cndmask_b32_e64 v112, v66, v112, s[40:41]                // 0000000254F8: D1000070 00A2E142
	v_cmp_le_u32_e64 s[40:41], v241, v64                       // 000000025500: D0CB0028 000281F1
	v_add_u32_e32 v241, 64, v241                               // 000000025508: 69E3E2C0
	s_nop 0                                                    // 00000002550C: BF800000
	v_cndmask_b32_e64 v113, v66, v113, s[40:41]                // 000000025510: D1000071 00A2E342
	v_cmp_le_u32_e64 s[40:41], v242, v64                       // 000000025518: D0CB0028 000281F2
	v_add_u32_e32 v242, 64, v242                               // 000000025520: 69E5E4C0
	s_nop 0                                                    // 000000025524: BF800000
	v_cndmask_b32_e64 v114, v66, v114, s[40:41]                // 000000025528: D1000072 00A2E542
	v_cmp_le_u32_e64 s[40:41], v243, v64                       // 000000025530: D0CB0028 000281F3
	v_add_u32_e32 v243, 64, v243                               // 000000025538: 69E7E6C0
	s_nop 0                                                    // 00000002553C: BF800000
	v_cndmask_b32_e64 v115, v66, v115, s[40:41]                // 000000025540: D1000073 00A2E742
	v_cmp_le_u32_e64 s[40:41], v240, v64                       // 000000025548: D0CB0028 000281F0
	v_add_u32_e32 v240, 64, v240                               // 000000025550: 69E1E0C0
	s_nop 0                                                    // 000000025554: BF800000
	v_cndmask_b32_e64 v116, v66, v116, s[40:41]                // 000000025558: D1000074 00A2E942
	v_cmp_le_u32_e64 s[40:41], v241, v64                       // 000000025560: D0CB0028 000281F1
	v_add_u32_e32 v241, 64, v241                               // 000000025568: 69E3E2C0
	s_nop 0                                                    // 00000002556C: BF800000
	v_cndmask_b32_e64 v117, v66, v117, s[40:41]                // 000000025570: D1000075 00A2EB42
	v_cmp_le_u32_e64 s[40:41], v242, v64                       // 000000025578: D0CB0028 000281F2
	v_add_u32_e32 v242, 64, v242                               // 000000025580: 69E5E4C0
	s_nop 0                                                    // 000000025584: BF800000
	v_cndmask_b32_e64 v118, v66, v118, s[40:41]                // 000000025588: D1000076 00A2ED42
	v_cmp_le_u32_e64 s[40:41], v243, v64                       // 000000025590: D0CB0028 000281F3
	v_add_u32_e32 v243, 64, v243                               // 000000025598: 69E7E6C0
	s_nop 0                                                    // 00000002559C: BF800000
	v_cndmask_b32_e64 v119, v66, v119, s[40:41]                // 0000000255A0: D1000077 00A2EF42
	v_cmp_le_u32_e64 s[40:41], v240, v64                       // 0000000255A8: D0CB0028 000281F0
	v_add_u32_e32 v240, 64, v240                               // 0000000255B0: 69E1E0C0
	s_nop 0                                                    // 0000000255B4: BF800000
	v_cndmask_b32_e64 v120, v66, v120, s[40:41]                // 0000000255B8: D1000078 00A2F142
	v_cmp_le_u32_e64 s[40:41], v241, v64                       // 0000000255C0: D0CB0028 000281F1
	v_add_u32_e32 v241, 64, v241                               // 0000000255C8: 69E3E2C0
	s_nop 0                                                    // 0000000255CC: BF800000
	v_cndmask_b32_e64 v121, v66, v121, s[40:41]                // 0000000255D0: D1000079 00A2F342
	v_cmp_le_u32_e64 s[40:41], v242, v64                       // 0000000255D8: D0CB0028 000281F2
	v_add_u32_e32 v242, 64, v242                               // 0000000255E0: 69E5E4C0
	s_nop 0                                                    // 0000000255E4: BF800000
	v_cndmask_b32_e64 v122, v66, v122, s[40:41]                // 0000000255E8: D100007A 00A2F542
	v_cmp_le_u32_e64 s[40:41], v243, v64                       // 0000000255F0: D0CB0028 000281F3
	v_add_u32_e32 v243, 64, v243                               // 0000000255F8: 69E7E6C0
	s_nop 0                                                    // 0000000255FC: BF800000
	v_cndmask_b32_e64 v123, v66, v123, s[40:41]                // 000000025600: D100007B 00A2F742
	v_cmp_le_u32_e64 s[40:41], v240, v64                       // 000000025608: D0CB0028 000281F0
	v_add_u32_e32 v240, 64, v240                               // 000000025610: 69E1E0C0
	s_nop 0                                                    // 000000025614: BF800000
	v_cndmask_b32_e64 v124, v66, v124, s[40:41]                // 000000025618: D100007C 00A2F942
	v_cmp_le_u32_e64 s[40:41], v241, v64                       // 000000025620: D0CB0028 000281F1
	v_add_u32_e32 v241, 64, v241                               // 000000025628: 69E3E2C0
	s_nop 0                                                    // 00000002562C: BF800000
	v_cndmask_b32_e64 v125, v66, v125, s[40:41]                // 000000025630: D100007D 00A2FB42
	v_cmp_le_u32_e64 s[40:41], v242, v64                       // 000000025638: D0CB0028 000281F2
	v_add_u32_e32 v242, 64, v242                               // 000000025640: 69E5E4C0
	s_nop 0                                                    // 000000025644: BF800000
	v_cndmask_b32_e64 v126, v66, v126, s[40:41]                // 000000025648: D100007E 00A2FD42
	v_cmp_le_u32_e64 s[40:41], v243, v64                       // 000000025650: D0CB0028 000281F3
	v_add_u32_e32 v243, 64, v243                               // 000000025658: 69E7E6C0
	s_nop 0                                                    // 00000002565C: BF800000
	v_cndmask_b32_e64 v127, v66, v127, s[40:41]                // 000000025660: D100007F 00A2FF42

0000000000025668 <label_8D1A>:
	v_mov_b32_e32 v48, v112                                    // 000000025668: 7E600370
	v_max3_f32 v48, v112, v113, v48                            // 00000002566C: D1D30030 04C2E370
	v_max3_f32 v48, v114, v115, v48                            // 000000025674: D1D30030 04C2E772
	v_max3_f32 v48, v116, v117, v48                            // 00000002567C: D1D30030 04C2EB74
	v_max3_f32 v48, v118, v119, v48                            // 000000025684: D1D30030 04C2EF76
	v_max3_f32 v48, v120, v121, v48                            // 00000002568C: D1D30030 04C2F378
	v_max3_f32 v48, v122, v123, v48                            // 000000025694: D1D30030 04C2F77A
	v_max3_f32 v48, v124, v125, v48                            // 00000002569C: D1D30030 04C2FB7C
	v_max3_f32 v48, v126, v127, v48                            // 0000000256A4: D1D30030 04C2FF7E
	ds_write_b32 v8, v48 offset:16896                          // 0000000256AC: D81A4200 00003008
	buffer_load_dwordx4 a[56:59], v29, s[16:19], 0 offen       // 0000000256B4: E05C1000 8084381D
	v_mul_u32_u24_dpp v64, v17, v54 row_newbcast:1 row_mask:0xf bank_mask:0xf// 0000000256BC: 10806CFA FF015111
	v_mul_u32_u24_dpp v65, v17, v54 row_newbcast:5 row_mask:0xf bank_mask:0xf// 0000000256C4: 10826CFA FF015511
	v_mul_u32_u24_dpp v66, v17, v54 row_newbcast:9 row_mask:0xf bank_mask:0xf// 0000000256CC: 10846CFA FF015911
	v_mul_u32_u24_dpp v67, v17, v54 row_newbcast:13 row_mask:0xf bank_mask:0xf// 0000000256D4: 10866CFA FF015D11
	v_add_u32_e32 v34, v64, v6                                 // 0000000256DC: 68440D40
	v_add_u32_e32 v35, v65, v6                                 // 0000000256E0: 68460D41
	v_add_u32_e32 v36, v66, v6                                 // 0000000256E4: 68480D42
	v_add_u32_e32 v37, v67, v6                                 // 0000000256E8: 684A0D43
	v_mul_f32_e32 v208, v49, v208                              // 0000000256EC: 0BA1A131
	v_mul_f32_e32 v209, v49, v209                              // 0000000256F0: 0BA3A331
	v_mul_f32_e32 v210, v49, v210                              // 0000000256F4: 0BA5A531
	v_mul_f32_e32 v211, v49, v211                              // 0000000256F8: 0BA7A731
	v_mul_f32_e32 v212, v49, v212                              // 0000000256FC: 0BA9A931
	v_mul_f32_e32 v213, v49, v213                              // 000000025700: 0BABAB31
	v_mul_f32_e32 v214, v49, v214                              // 000000025704: 0BADAD31
	v_mul_f32_e32 v215, v49, v215                              // 000000025708: 0BAFAF31
	s_waitcnt lgkmcnt(0)                                       // 00000002570C: BF8CC07F
	s_barrier                                                  // 000000025710: BF8A0000
	ds_read_b32 v64, v7 offset:16896                           // 000000025714: D86C4200 40000007
	ds_read_b32 v65, v7 offset:16960                           // 00000002571C: D86C4240 41000007
	ds_read_b32 v66, v7 offset:17024                           // 000000025724: D86C4280 42000007
	ds_read_b32 v67, v7 offset:17088                           // 00000002572C: D86C42C0 43000007
	ds_read_b32 v68, v7 offset:17152                           // 000000025734: D86C4300 44000007
	ds_read_b32 v69, v7 offset:17216                           // 00000002573C: D86C4340 45000007
	ds_read_b32 v70, v7 offset:17280                           // 000000025744: D86C4380 46000007
	ds_read_b32 v71, v7 offset:17344                           // 00000002574C: D86C43C0 47000007
	ds_read_b32 v72, v7 offset:17408                           // 000000025754: D86C4400 48000007
	ds_read_b32 v73, v7 offset:17472                           // 00000002575C: D86C4440 49000007
	ds_read_b32 v74, v7 offset:17536                           // 000000025764: D86C4480 4A000007
	ds_read_b32 v75, v7 offset:17600                           // 00000002576C: D86C44C0 4B000007
	ds_read_b32 v76, v7 offset:17664                           // 000000025774: D86C4500 4C000007
	ds_read_b32 v77, v7 offset:17728                           // 00000002577C: D86C4540 4D000007
	ds_read_b32 v78, v7 offset:17792                           // 000000025784: D86C4580 4E000007
	ds_read_b32 v79, v7 offset:17856                           // 00000002578C: D86C45C0 4F000007
	buffer_load_dwordx4 a[60:63], v29, s[16:19], 0 offen offset:1024// 000000025794: E05C1400 80843C1D
	v_cvt_f32_i32_e32 v176, v176                               // 00000002579C: 7F600BB0
	v_cvt_f32_i32_e32 v177, v177                               // 0000000257A0: 7F620BB1
	v_cvt_f32_i32_e32 v178, v178                               // 0000000257A4: 7F640BB2
	v_cvt_f32_i32_e32 v179, v179                               // 0000000257A8: 7F660BB3
	v_cvt_f32_i32_e32 v180, v180                               // 0000000257AC: 7F680BB4
	v_cvt_f32_i32_e32 v181, v181                               // 0000000257B0: 7F6A0BB5
	v_cvt_f32_i32_e32 v182, v182                               // 0000000257B4: 7F6C0BB6
	v_cvt_f32_i32_e32 v183, v183                               // 0000000257B8: 7F6E0BB7
	v_mul_f32_e32 v176, v44, v176                              // 0000000257BC: 0B61612C
	v_mul_f32_e32 v177, v44, v177                              // 0000000257C0: 0B63632C
	v_mul_f32_e32 v178, v44, v178                              // 0000000257C4: 0B65652C
	v_mul_f32_e32 v179, v44, v179                              // 0000000257C8: 0B67672C
	v_mul_f32_e32 v180, v44, v180                              // 0000000257CC: 0B69692C
	v_mul_f32_e32 v181, v44, v181                              // 0000000257D0: 0B6B6B2C
	v_mul_f32_e32 v182, v44, v182                              // 0000000257D4: 0B6D6D2C
	v_mul_f32_e32 v183, v44, v183                              // 0000000257D8: 0B6F6F2C
	s_waitcnt lgkmcnt(0)                                       // 0000000257DC: BF8CC07F
	v_max3_f32 v48, v64, v65, v48                              // 0000000257E0: D1D30030 04C28340
	v_max3_f32 v48, v66, v67, v48                              // 0000000257E8: D1D30030 04C28742
	v_max3_f32 v48, v68, v69, v48                              // 0000000257F0: D1D30030 04C28B44
	v_max3_f32 v48, v70, v71, v48                              // 0000000257F8: D1D30030 04C28F46
	v_max3_f32 v48, v72, v73, v48                              // 000000025800: D1D30030 04C29348
	v_max3_f32 v48, v74, v75, v48                              // 000000025808: D1D30030 04C2974A
	v_max3_f32 v48, v76, v77, v48                              // 000000025810: D1D30030 04C29B4C
	v_max3_f32 v48, v78, v79, v48                              // 000000025818: D1D30030 04C29F4E
	buffer_load_dwordx4 a[96:99], v34, s[20:23], 0 offen       // 000000025820: E05C1000 80856022
	v_mov_b32_e32 v64, 0xff800000                              // 000000025828: 7E8002FF FF800000
	v_cmp_eq_u32_e64 s[40:41], v64, v11                        // 000000025830: D0CA0028 00021740
	s_nop 1                                                    // 000000025838: BF800001
	v_max_f32_e32 v15, v48, v11                                // 00000002583C: 161E1730
	v_mul_f32_e32 v53, s64, v15                                // 000000025840: 0A6A1E40
	v_fma_f32 v112, v112, s64, -v53                            // 000000025844: D1CB0070 84D48170
	v_fma_f32 v113, v113, s64, -v53                            // 00000002584C: D1CB0071 84D48171
	v_fma_f32 v114, v114, s64, -v53                            // 000000025854: D1CB0072 84D48172
	v_fma_f32 v115, v115, s64, -v53                            // 00000002585C: D1CB0073 84D48173
	v_fma_f32 v116, v116, s64, -v53                            // 000000025864: D1CB0074 84D48174
	v_fma_f32 v117, v117, s64, -v53                            // 00000002586C: D1CB0075 84D48175
	v_fma_f32 v118, v118, s64, -v53                            // 000000025874: D1CB0076 84D48176
	v_fma_f32 v119, v119, s64, -v53                            // 00000002587C: D1CB0077 84D48177
	v_fma_f32 v120, v120, s64, -v53                            // 000000025884: D1CB0078 84D48178
	v_fma_f32 v121, v121, s64, -v53                            // 00000002588C: D1CB0079 84D48179
	v_fma_f32 v122, v122, s64, -v53                            // 000000025894: D1CB007A 84D4817A
	v_fma_f32 v123, v123, s64, -v53                            // 00000002589C: D1CB007B 84D4817B
	v_fma_f32 v124, v124, s64, -v53                            // 0000000258A4: D1CB007C 84D4817C
	v_fma_f32 v125, v125, s64, -v53                            // 0000000258AC: D1CB007D 84D4817D
	v_fma_f32 v126, v126, s64, -v53                            // 0000000258B4: D1CB007E 84D4817E
	v_fma_f32 v127, v127, s64, -v53                            // 0000000258BC: D1CB007F 84D4817F
	buffer_load_dwordx4 a[100:103], v35, s[20:23], 0 offen     // 0000000258C4: E05C1000 80856423
	v_exp_f32_e32 v112, v112                                   // 0000000258CC: 7EE04170
	v_exp_f32_e32 v113, v113                                   // 0000000258D0: 7EE24171
	v_exp_f32_e32 v114, v114                                   // 0000000258D4: 7EE44172
	v_exp_f32_e32 v115, v115                                   // 0000000258D8: 7EE64173
	v_exp_f32_e32 v116, v116                                   // 0000000258DC: 7EE84174
	v_exp_f32_e32 v117, v117                                   // 0000000258E0: 7EEA4175
	v_exp_f32_e32 v118, v118                                   // 0000000258E4: 7EEC4176
	v_exp_f32_e32 v119, v119                                   // 0000000258E8: 7EEE4177
	v_exp_f32_e32 v120, v120                                   // 0000000258EC: 7EF04178
	v_exp_f32_e32 v121, v121                                   // 0000000258F0: 7EF24179
	v_exp_f32_e32 v122, v122                                   // 0000000258F4: 7EF4417A
	v_exp_f32_e32 v123, v123                                   // 0000000258F8: 7EF6417B
	v_exp_f32_e32 v124, v124                                   // 0000000258FC: 7EF8417C
	v_exp_f32_e32 v125, v125                                   // 000000025900: 7EFA417D
	v_exp_f32_e32 v126, v126                                   // 000000025904: 7EFC417E
	v_exp_f32_e32 v127, v127                                   // 000000025908: 7EFE417F
	buffer_load_dwordx4 a[104:107], v36, s[20:23], 0 offen     // 00000002590C: E05C1000 80856824
	v_mul_f32_dpp v240, v252, v112 quad_perm:[0,0,0,0] row_mask:0xf bank_mask:0xf// 000000025914: 0BE0E0FA FF0000FC
	v_mul_f32_dpp v241, v252, v113 quad_perm:[1,1,1,1] row_mask:0xf bank_mask:0xf// 00000002591C: 0BE2E2FA FF0055FC
	v_mul_f32_dpp v242, v252, v114 quad_perm:[2,2,2,2] row_mask:0xf bank_mask:0xf// 000000025924: 0BE4E4FA FF00AAFC
	v_mul_f32_dpp v243, v252, v115 quad_perm:[3,3,3,3] row_mask:0xf bank_mask:0xf// 00000002592C: 0BE6E6FA FF00FFFC
	v_mul_f32_dpp v244, v253, v116 quad_perm:[0,0,0,0] row_mask:0xf bank_mask:0xf// 000000025934: 0BE8E8FA FF0000FD
	v_mul_f32_dpp v245, v253, v117 quad_perm:[1,1,1,1] row_mask:0xf bank_mask:0xf// 00000002593C: 0BEAEAFA FF0055FD
	v_mul_f32_dpp v246, v253, v118 quad_perm:[2,2,2,2] row_mask:0xf bank_mask:0xf// 000000025944: 0BECECFA FF00AAFD
	v_mul_f32_dpp v247, v253, v119 quad_perm:[3,3,3,3] row_mask:0xf bank_mask:0xf// 00000002594C: 0BEEEEFA FF00FFFD
	v_mul_f32_dpp v248, v254, v120 quad_perm:[0,0,0,0] row_mask:0xf bank_mask:0xf// 000000025954: 0BF0F0FA FF0000FE
	v_mul_f32_dpp v249, v254, v121 quad_perm:[1,1,1,1] row_mask:0xf bank_mask:0xf// 00000002595C: 0BF2F2FA FF0055FE
	v_mul_f32_dpp v250, v254, v122 quad_perm:[2,2,2,2] row_mask:0xf bank_mask:0xf// 000000025964: 0BF4F4FA FF00AAFE
	v_mul_f32_dpp v251, v254, v123 quad_perm:[3,3,3,3] row_mask:0xf bank_mask:0xf// 00000002596C: 0BF6F6FA FF00FFFE
	v_mul_f32_dpp v252, v255, v124 quad_perm:[0,0,0,0] row_mask:0xf bank_mask:0xf// 000000025974: 0BF8F8FA FF0000FF
	v_mul_f32_dpp v253, v255, v125 quad_perm:[1,1,1,1] row_mask:0xf bank_mask:0xf// 00000002597C: 0BFAFAFA FF0055FF
	v_mul_f32_dpp v254, v255, v126 quad_perm:[2,2,2,2] row_mask:0xf bank_mask:0xf// 000000025984: 0BFCFCFA FF00AAFF
	v_mul_f32_dpp v255, v255, v127 quad_perm:[3,3,3,3] row_mask:0xf bank_mask:0xf// 00000002598C: 0BFEFEFA FF00FFFF
	v_mov_b32_e32 v48, 0x358637bd                              // 000000025994: 7E6002FF 358637BD
	v_max3_f32 v48, |v240|, |v241|, v48                        // 00000002599C: D1D30330 04C3E3F0
	v_max3_f32 v48, |v242|, |v243|, v48                        // 0000000259A4: D1D30330 04C3E7F2
	v_max3_f32 v48, |v244|, |v245|, v48                        // 0000000259AC: D1D30330 04C3EBF4
	v_max3_f32 v48, |v246|, |v247|, v48                        // 0000000259B4: D1D30330 04C3EFF6
	v_max3_f32 v48, |v248|, |v249|, v48                        // 0000000259BC: D1D30330 04C3F3F8
	v_max3_f32 v48, |v250|, |v251|, v48                        // 0000000259C4: D1D30330 04C3F7FA
	v_max3_f32 v48, |v252|, |v253|, v48                        // 0000000259CC: D1D30330 04C3FBFC
	v_max3_f32 v48, |v254|, |v255|, v48                        // 0000000259D4: D1D30330 04C3FFFE
	buffer_load_dwordx4 a[108:111], v37, s[20:23], 0 offen     // 0000000259DC: E05C1000 80856C25
	ds_write_b32 v8, v48 offset:20992                          // 0000000259E4: D81A5200 00003008
	v_sub_f32_e32 v49, v11, v15                                // 0000000259EC: 04621F0B
	v_cndmask_b32_e64 v49, v49, 0, s[40:41]                    // 0000000259F0: D1000031 00A10131
	v_mov_b32_e32 v11, v15                                     // 0000000259F8: 7E16030F
	v_mul_f32_e32 v49, s64, v49                                // 0000000259FC: 0A626240
	v_exp_f32_e32 v49, v49                                     // 000000025A00: 7E624131
	s_waitcnt lgkmcnt(0)                                       // 000000025A04: BF8CC07F
	s_barrier                                                  // 000000025A08: BF8A0000
	ds_read_b32 v64, v7 offset:20992                           // 000000025A0C: D86C5200 40000007
	ds_read_b32 v65, v7 offset:21056                           // 000000025A14: D86C5240 41000007
	ds_read_b32 v66, v7 offset:21120                           // 000000025A1C: D86C5280 42000007
	ds_read_b32 v67, v7 offset:21184                           // 000000025A24: D86C52C0 43000007
	ds_read_b32 v68, v7 offset:21248                           // 000000025A2C: D86C5300 44000007
	ds_read_b32 v69, v7 offset:21312                           // 000000025A34: D86C5340 45000007
	ds_read_b32 v70, v7 offset:21376                           // 000000025A3C: D86C5380 46000007
	ds_read_b32 v71, v7 offset:21440                           // 000000025A44: D86C53C0 47000007
	ds_read_b32 v72, v7 offset:21504                           // 000000025A4C: D86C5400 48000007
	ds_read_b32 v73, v7 offset:21568                           // 000000025A54: D86C5440 49000007
	ds_read_b32 v74, v7 offset:21632                           // 000000025A5C: D86C5480 4A000007
	ds_read_b32 v75, v7 offset:21696                           // 000000025A64: D86C54C0 4B000007
	ds_read_b32 v76, v7 offset:21760                           // 000000025A6C: D86C5500 4C000007
	ds_read_b32 v77, v7 offset:21824                           // 000000025A74: D86C5540 4D000007
	ds_read_b32 v78, v7 offset:21888                           // 000000025A7C: D86C5580 4E000007
	ds_read_b32 v79, v7 offset:21952                           // 000000025A84: D86C55C0 4F000007
	v_mul_f32_e32 v38, v49, v38                                // 000000025A8C: 0A4C4D31
	v_mov_b32_e32 v15, v112                                    // 000000025A90: 7E1E0370
	v_add_f32_e32 v15, v113, v15                               // 000000025A94: 021E1F71
	v_add_f32_e32 v15, v114, v15                               // 000000025A98: 021E1F72
	v_add_f32_e32 v15, v115, v15                               // 000000025A9C: 021E1F73
	v_add_f32_e32 v15, v116, v15                               // 000000025AA0: 021E1F74
	v_add_f32_e32 v15, v117, v15                               // 000000025AA4: 021E1F75
	v_add_f32_e32 v15, v118, v15                               // 000000025AA8: 021E1F76
	v_add_f32_e32 v15, v119, v15                               // 000000025AAC: 021E1F77
	v_add_f32_e32 v15, v120, v15                               // 000000025AB0: 021E1F78
	v_add_f32_e32 v15, v121, v15                               // 000000025AB4: 021E1F79
	v_add_f32_e32 v15, v122, v15                               // 000000025AB8: 021E1F7A
	v_add_f32_e32 v15, v123, v15                               // 000000025ABC: 021E1F7B
	v_add_f32_e32 v15, v124, v15                               // 000000025AC0: 021E1F7C
	v_add_f32_e32 v15, v125, v15                               // 000000025AC4: 021E1F7D
	v_add_f32_e32 v15, v126, v15                               // 000000025AC8: 021E1F7E
	v_add_f32_e32 v15, v127, v15                               // 000000025ACC: 021E1F7F
	v_add_f32_e32 v38, v15, v38                                // 000000025AD0: 024C4D0F
	s_waitcnt lgkmcnt(0)                                       // 000000025AD4: BF8CC07F
	v_max3_f32 v48, |v64|, |v65|, v48                          // 000000025AD8: D1D30330 04C28340
	v_max3_f32 v48, |v66|, |v67|, v48                          // 000000025AE0: D1D30330 04C28742
	v_max3_f32 v48, |v68|, |v69|, v48                          // 000000025AE8: D1D30330 04C28B44
	v_max3_f32 v48, |v70|, |v71|, v48                          // 000000025AF0: D1D30330 04C28F46
	v_max3_f32 v48, |v72|, |v73|, v48                          // 000000025AF8: D1D30330 04C29348
	v_max3_f32 v48, |v74|, |v75|, v48                          // 000000025B00: D1D30330 04C2974A
	v_max3_f32 v48, |v76|, |v77|, v48                          // 000000025B08: D1D30330 04C29B4C
	v_max3_f32 v48, |v78|, |v79|, v48                          // 000000025B10: D1D30330 04C29F4E
	s_nop 2                                                    // 000000025B18: BF800002
	v_rcp_f32_e32 v48, v48                                     // 000000025B1C: 7E604530
	s_nop 1                                                    // 000000025B20: BF800001
	v_mul_f32_e32 v48, 0x42fe0000, v48                         // 000000025B24: 0A6060FF 42FE0000
	v_mul_f32_e32 v112, v48, v240                              // 000000025B2C: 0AE1E130
	v_mul_f32_e32 v113, v48, v241                              // 000000025B30: 0AE3E330
	v_mul_f32_e32 v114, v48, v242                              // 000000025B34: 0AE5E530
	v_mul_f32_e32 v115, v48, v243                              // 000000025B38: 0AE7E730
	v_mul_f32_e32 v116, v48, v244                              // 000000025B3C: 0AE9E930
	v_mul_f32_e32 v117, v48, v245                              // 000000025B40: 0AEBEB30
	v_mul_f32_e32 v118, v48, v246                              // 000000025B44: 0AEDED30
	v_mul_f32_e32 v119, v48, v247                              // 000000025B48: 0AEFEF30
	v_mul_f32_e32 v120, v48, v248                              // 000000025B4C: 0AF1F130
	v_mul_f32_e32 v121, v48, v249                              // 000000025B50: 0AF3F330
	v_mul_f32_e32 v122, v48, v250                              // 000000025B54: 0AF5F530
	v_mul_f32_e32 v123, v48, v251                              // 000000025B58: 0AF7F730
	v_mul_f32_e32 v124, v48, v252                              // 000000025B5C: 0AF9F930
	v_mul_f32_e32 v125, v48, v253                              // 000000025B60: 0AFBFB30
	v_mul_f32_e32 v126, v48, v254                              // 000000025B64: 0AFDFD30
	v_mul_f32_e32 v127, v48, v255                              // 000000025B68: 0AFFFF30
	v_cvt_i32_f32_e32 v112, v112                               // 000000025B6C: 7EE01170
	v_cvt_i32_f32_e32 v113, v113                               // 000000025B70: 7EE21171
	v_cvt_i32_f32_e32 v114, v114                               // 000000025B74: 7EE41172
	v_cvt_i32_f32_e32 v115, v115                               // 000000025B78: 7EE61173
	v_cvt_i32_f32_e32 v116, v116                               // 000000025B7C: 7EE81174
	v_cvt_i32_f32_e32 v117, v117                               // 000000025B80: 7EEA1175
	v_cvt_i32_f32_e32 v118, v118                               // 000000025B84: 7EEC1176
	v_cvt_i32_f32_e32 v119, v119                               // 000000025B88: 7EEE1177
	v_cvt_i32_f32_e32 v120, v120                               // 000000025B8C: 7EF01178
	v_cvt_i32_f32_e32 v121, v121                               // 000000025B90: 7EF21179
	v_cvt_i32_f32_e32 v122, v122                               // 000000025B94: 7EF4117A
	v_cvt_i32_f32_e32 v123, v123                               // 000000025B98: 7EF6117B
	v_cvt_i32_f32_e32 v124, v124                               // 000000025B9C: 7EF8117C
	v_cvt_i32_f32_e32 v125, v125                               // 000000025BA0: 7EFA117D
	v_cvt_i32_f32_e32 v126, v126                               // 000000025BA4: 7EFC117E
	v_cvt_i32_f32_e32 v127, v127                               // 000000025BA8: 7EFE117F
	v_perm_b32 v112, v113, v112, s53                           // 000000025BAC: D1ED0070 00D6E171
	v_perm_b32 v112, v114, v112, s54                           // 000000025BB4: D1ED0070 00DAE172
	v_perm_b32 v112, v115, v112, s55                           // 000000025BBC: D1ED0070 00DEE173
	v_perm_b32 v113, v117, v116, s53                           // 000000025BC4: D1ED0071 00D6E975
	v_perm_b32 v113, v118, v113, s54                           // 000000025BCC: D1ED0071 00DAE376
	v_perm_b32 v113, v119, v113, s55                           // 000000025BD4: D1ED0071 00DEE377
	v_perm_b32 v114, v121, v120, s53                           // 000000025BDC: D1ED0072 00D6F179
	v_perm_b32 v114, v122, v114, s54                           // 000000025BE4: D1ED0072 00DAE57A
	v_perm_b32 v114, v123, v114, s55                           // 000000025BEC: D1ED0072 00DEE57B
	v_perm_b32 v115, v125, v124, s53                           // 000000025BF4: D1ED0073 00D6F97D
	v_perm_b32 v115, v126, v115, s54                           // 000000025BFC: D1ED0073 00DAE77E
	v_perm_b32 v115, v127, v115, s55                           // 000000025C04: D1ED0073 00DEE77F
	ds_write_b32 v10, v112 offset:25088                        // 000000025C0C: D81A6200 0000700A
	ds_write_b32 v10, v113 offset:26112                        // 000000025C14: D81A6600 0000710A
	ds_write_b32 v10, v114 offset:27136                        // 000000025C1C: D81A6A00 0000720A
	ds_write_b32 v10, v115 offset:28160                        // 000000025C24: D81A6E00 0000730A
	v_add_f32_e32 v208, v208, v176                             // 000000025C2C: 03A161D0
	v_add_f32_e32 v209, v209, v177                             // 000000025C30: 03A363D1
	v_add_f32_e32 v210, v210, v178                             // 000000025C34: 03A565D2
	v_add_f32_e32 v211, v211, v179                             // 000000025C38: 03A767D3
	v_add_f32_e32 v212, v212, v180                             // 000000025C3C: 03A969D4
	v_add_f32_e32 v213, v213, v181                             // 000000025C40: 03AB6BD5
	v_add_f32_e32 v214, v214, v182                             // 000000025C44: 03AD6DD6
	v_add_f32_e32 v215, v215, v183                             // 000000025C48: 03AF6FD7
	v_rcp_f32_e32 v44, v48                                     // 000000025C4C: 7E584530
	s_waitcnt lgkmcnt(0)                                       // 000000025C50: BF8CC07F
	s_barrier                                                  // 000000025C54: BF8A0000
	ds_read_b64 v[112:113], v9 offset:25088                    // 000000025C58: D8EC6200 70000009
	ds_read_b64 v[114:115], v9 offset:25216                    // 000000025C60: D8EC6280 72000009
	ds_read_b64 v[116:117], v9 offset:26112                    // 000000025C68: D8EC6600 74000009
	ds_read_b64 v[118:119], v9 offset:26240                    // 000000025C70: D8EC6680 76000009
	ds_read_b64 v[120:121], v9 offset:27136                    // 000000025C78: D8EC6A00 78000009
	ds_read_b64 v[122:123], v9 offset:27264                    // 000000025C80: D8EC6A80 7A000009
	ds_read_b64 v[124:125], v9 offset:28160                    // 000000025C88: D8EC6E00 7C000009
	ds_read_b64 v[126:127], v9 offset:28288                    // 000000025C90: D8EC6E80 7E000009
	v_mov_b32_dpp v64, v42 row_shr:4 row_mask:0xf bank_mask:0xf// 000000025C98: 7E8002FA FF01142A
	v_mov_b32_dpp v65, v42 row_shl:4 row_mask:0xf bank_mask:0xf// 000000025CA0: 7E8202FA FF01042A
	v_cndmask_b32_e64 v248, v42, v64, s[44:45]                 // 000000025CA8: D10000F8 00B2812A
	v_cndmask_b32_e64 v249, v65, v42, s[44:45]                 // 000000025CB0: D10000F9 00B25541
	v_mov_b32_dpp v64, v248 row_shr:8 row_mask:0xf bank_mask:0xf// 000000025CB8: 7E8002FA FF0118F8
	v_mov_b32_dpp v65, v248 row_shl:8 row_mask:0xf bank_mask:0xf// 000000025CC0: 7E8202FA FF0108F8
	v_mov_b32_dpp v66, v249 row_shr:8 row_mask:0xf bank_mask:0xf// 000000025CC8: 7E8402FA FF0118F9
	v_mov_b32_dpp v67, v249 row_shl:8 row_mask:0xf bank_mask:0xf// 000000025CD0: 7E8602FA FF0108F9
	v_mov_b32_e32 v68, v248                                    // 000000025CD8: 7E8803F8
	v_mov_b32_e32 v69, v249                                    // 000000025CDC: 7E8A03F9
	v_cndmask_b32_e64 v248, v68, v64, s[42:43]                 // 000000025CE0: D10000F8 00AA8144
	v_cndmask_b32_e64 v250, v68, v65, s[78:79]                 // 000000025CE8: D10000FA 013A8344
	v_cndmask_b32_e64 v249, v69, v66, s[42:43]                 // 000000025CF0: D10000F9 00AA8545
	v_cndmask_b32_e64 v251, v69, v67, s[78:79]                 // 000000025CF8: D10000FB 013A8745
	v_mov_b32_dpp v64, v57 row_shr:4 row_mask:0xf bank_mask:0xf// 000000025D00: 7E8002FA FF011439
	v_mov_b32_dpp v65, v57 row_shl:4 row_mask:0xf bank_mask:0xf// 000000025D08: 7E8202FA FF010439
	v_cndmask_b32_e64 v252, v57, v64, s[44:45]                 // 000000025D10: D10000FC 00B28139
	v_cndmask_b32_e64 v253, v65, v57, s[44:45]                 // 000000025D18: D10000FD 00B27341
	v_mov_b32_dpp v64, v252 row_shr:8 row_mask:0xf bank_mask:0xf// 000000025D20: 7E8002FA FF0118FC
	v_mov_b32_dpp v65, v252 row_shl:8 row_mask:0xf bank_mask:0xf// 000000025D28: 7E8202FA FF0108FC
	v_mov_b32_dpp v66, v253 row_shr:8 row_mask:0xf bank_mask:0xf// 000000025D30: 7E8402FA FF0118FD
	v_mov_b32_dpp v67, v253 row_shl:8 row_mask:0xf bank_mask:0xf// 000000025D38: 7E8602FA FF0108FD
	v_mov_b32_e32 v68, v252                                    // 000000025D40: 7E8803FC
	v_mov_b32_e32 v69, v253                                    // 000000025D44: 7E8A03FD
	v_cndmask_b32_e64 v252, v68, v64, s[42:43]                 // 000000025D48: D10000FC 00AA8144
	v_cndmask_b32_e64 v254, v68, v65, s[78:79]                 // 000000025D50: D10000FE 013A8344
	v_cndmask_b32_e64 v253, v69, v66, s[42:43]                 // 000000025D58: D10000FD 00AA8545
	v_cndmask_b32_e64 v255, v69, v67, s[78:79]                 // 000000025D60: D10000FF 013A8745
	v_cvt_f32_i32_e32 v128, v128                               // 000000025D68: 7F000B80
	v_cvt_f32_i32_e32 v129, v129                               // 000000025D6C: 7F020B81
	v_cvt_f32_i32_e32 v130, v130                               // 000000025D70: 7F040B82
	v_cvt_f32_i32_e32 v131, v131                               // 000000025D74: 7F060B83
	v_cvt_f32_i32_e32 v132, v132                               // 000000025D78: 7F080B84
	v_cvt_f32_i32_e32 v133, v133                               // 000000025D7C: 7F0A0B85
	v_cvt_f32_i32_e32 v134, v134                               // 000000025D80: 7F0C0B86
	v_cvt_f32_i32_e32 v135, v135                               // 000000025D84: 7F0E0B87
	v_cvt_f32_i32_e32 v136, v136                               // 000000025D88: 7F100B88
	v_cvt_f32_i32_e32 v137, v137                               // 000000025D8C: 7F120B89
	v_cvt_f32_i32_e32 v138, v138                               // 000000025D90: 7F140B8A
	v_cvt_f32_i32_e32 v139, v139                               // 000000025D94: 7F160B8B
	v_cvt_f32_i32_e32 v140, v140                               // 000000025D98: 7F180B8C
	v_cvt_f32_i32_e32 v141, v141                               // 000000025D9C: 7F1A0B8D
	v_cvt_f32_i32_e32 v142, v142                               // 000000025DA0: 7F1C0B8E
	v_cvt_f32_i32_e32 v143, v143                               // 000000025DA4: 7F1E0B8F
	v_mul_f32_e32 v128, v19, v128                              // 000000025DA8: 0B010113
	v_mul_f32_e32 v129, v19, v129                              // 000000025DAC: 0B030313
	v_mul_f32_e32 v130, v19, v130                              // 000000025DB0: 0B050513
	v_mul_f32_e32 v131, v19, v131                              // 000000025DB4: 0B070713
	v_mul_f32_e32 v132, v19, v132                              // 000000025DB8: 0B090913
	v_mul_f32_e32 v133, v19, v133                              // 000000025DBC: 0B0B0B13
	v_mul_f32_e32 v134, v19, v134                              // 000000025DC0: 0B0D0D13
	v_mul_f32_e32 v135, v19, v135                              // 000000025DC4: 0B0F0F13
	v_mul_f32_e32 v136, v19, v136                              // 000000025DC8: 0B111113
	v_mul_f32_e32 v137, v19, v137                              // 000000025DCC: 0B131313
	v_mul_f32_e32 v138, v19, v138                              // 000000025DD0: 0B151513
	v_mul_f32_e32 v139, v19, v139                              // 000000025DD4: 0B171713
	v_mul_f32_e32 v140, v19, v140                              // 000000025DD8: 0B191913
	v_mul_f32_e32 v141, v19, v141                              // 000000025DDC: 0B1B1B13
	v_mul_f32_e32 v142, v19, v142                              // 000000025DE0: 0B1D1D13
	v_mul_f32_e32 v143, v19, v143                              // 000000025DE4: 0B1F1F13
	v_mul_f32_dpp v128, v248, v128 quad_perm:[0,0,0,0] row_mask:0xf bank_mask:0xf// 000000025DE8: 0B0100FA FF0000F8
	v_mul_f32_dpp v129, v248, v129 quad_perm:[1,1,1,1] row_mask:0xf bank_mask:0xf// 000000025DF0: 0B0302FA FF0055F8
	v_mul_f32_dpp v130, v248, v130 quad_perm:[2,2,2,2] row_mask:0xf bank_mask:0xf// 000000025DF8: 0B0504FA FF00AAF8
	v_mul_f32_dpp v131, v248, v131 quad_perm:[3,3,3,3] row_mask:0xf bank_mask:0xf// 000000025E00: 0B0706FA FF00FFF8
	v_mul_f32_dpp v132, v249, v132 quad_perm:[0,0,0,0] row_mask:0xf bank_mask:0xf// 000000025E08: 0B0908FA FF0000F9
	v_mul_f32_dpp v133, v249, v133 quad_perm:[1,1,1,1] row_mask:0xf bank_mask:0xf// 000000025E10: 0B0B0AFA FF0055F9
	v_mul_f32_dpp v134, v249, v134 quad_perm:[2,2,2,2] row_mask:0xf bank_mask:0xf// 000000025E18: 0B0D0CFA FF00AAF9
	v_mul_f32_dpp v135, v249, v135 quad_perm:[3,3,3,3] row_mask:0xf bank_mask:0xf// 000000025E20: 0B0F0EFA FF00FFF9
	v_mul_f32_dpp v136, v250, v136 quad_perm:[0,0,0,0] row_mask:0xf bank_mask:0xf// 000000025E28: 0B1110FA FF0000FA
	v_mul_f32_dpp v137, v250, v137 quad_perm:[1,1,1,1] row_mask:0xf bank_mask:0xf// 000000025E30: 0B1312FA FF0055FA
	v_mul_f32_dpp v138, v250, v138 quad_perm:[2,2,2,2] row_mask:0xf bank_mask:0xf// 000000025E38: 0B1514FA FF00AAFA
	v_mul_f32_dpp v139, v250, v139 quad_perm:[3,3,3,3] row_mask:0xf bank_mask:0xf// 000000025E40: 0B1716FA FF00FFFA
	v_mul_f32_dpp v140, v251, v140 quad_perm:[0,0,0,0] row_mask:0xf bank_mask:0xf// 000000025E48: 0B1918FA FF0000FB
	v_mul_f32_dpp v141, v251, v141 quad_perm:[1,1,1,1] row_mask:0xf bank_mask:0xf// 000000025E50: 0B1B1AFA FF0055FB
	v_mul_f32_dpp v142, v251, v142 quad_perm:[2,2,2,2] row_mask:0xf bank_mask:0xf// 000000025E58: 0B1D1CFA FF00AAFB
	v_mul_f32_dpp v143, v251, v143 quad_perm:[3,3,3,3] row_mask:0xf bank_mask:0xf// 000000025E60: 0B1F1EFA FF00FFFB
	s_cmp_le_i32 s90, s89                                      // 000000025E68: BF05595A
	s_cbranch_scc1 label_8F8D                                  // 000000025E6C: BF850071
	v_mov_b32_e32 v66, 0xff800000                              // 000000025E70: 7E8402FF FF800000
	s_mov_b32 s60, s90                                         // 000000025E78: BEBC005A
	s_add_u32 s61, s89, 0xff                                   // 000000025E7C: 803DFF59 000000FF
	v_mov_b32_e32 v64, s61                                     // 000000025E84: 7E80023D
	v_lshrrev_b32_e32 v240, 4, v0                              // 000000025E88: 21E00084
	v_mul_i32_i24_e32 v240, 4, v240                            // 000000025E8C: 0DE1E084
	v_add_u32_e32 v240, s60, v240                              // 000000025E90: 69E1E03C
	s_mov_b32 s61, 1                                           // 000000025E94: BEBD0081
	s_mul_i32 s60, 16, s7                                      // 000000025E98: 923C0790
	v_sub_u32_e64 v240, v240, s61                              // 000000025E9C: D13500F0 00007BF0
	v_add_u32_e32 v240, s60, v240                              // 000000025EA4: 69E1E03C
	v_add_u32_e32 v241, 1, v240                                // 000000025EA8: 69E3E081
	v_add_u32_e32 v242, 2, v240                                // 000000025EAC: 69E5E082
	v_add_u32_e32 v243, 3, v240                                // 000000025EB0: 69E7E083
	v_cmp_le_u32_e64 s[40:41], v240, v64                       // 000000025EB4: D0CB0028 000281F0
	v_add_u32_e32 v240, 64, v240                               // 000000025EBC: 69E1E0C0
	s_nop 0                                                    // 000000025EC0: BF800000
	v_cndmask_b32_e64 v128, v66, v128, s[40:41]                // 000000025EC4: D1000080 00A30142
	v_cmp_le_u32_e64 s[40:41], v241, v64                       // 000000025ECC: D0CB0028 000281F1
	v_add_u32_e32 v241, 64, v241                               // 000000025ED4: 69E3E2C0
	s_nop 0                                                    // 000000025ED8: BF800000
	v_cndmask_b32_e64 v129, v66, v129, s[40:41]                // 000000025EDC: D1000081 00A30342
	v_cmp_le_u32_e64 s[40:41], v242, v64                       // 000000025EE4: D0CB0028 000281F2
	v_add_u32_e32 v242, 64, v242                               // 000000025EEC: 69E5E4C0
	s_nop 0                                                    // 000000025EF0: BF800000
	v_cndmask_b32_e64 v130, v66, v130, s[40:41]                // 000000025EF4: D1000082 00A30542
	v_cmp_le_u32_e64 s[40:41], v243, v64                       // 000000025EFC: D0CB0028 000281F3
	v_add_u32_e32 v243, 64, v243                               // 000000025F04: 69E7E6C0
	s_nop 0                                                    // 000000025F08: BF800000
	v_cndmask_b32_e64 v131, v66, v131, s[40:41]                // 000000025F0C: D1000083 00A30742
	v_cmp_le_u32_e64 s[40:41], v240, v64                       // 000000025F14: D0CB0028 000281F0
	v_add_u32_e32 v240, 64, v240                               // 000000025F1C: 69E1E0C0
	s_nop 0                                                    // 000000025F20: BF800000
	v_cndmask_b32_e64 v132, v66, v132, s[40:41]                // 000000025F24: D1000084 00A30942
	v_cmp_le_u32_e64 s[40:41], v241, v64                       // 000000025F2C: D0CB0028 000281F1
	v_add_u32_e32 v241, 64, v241                               // 000000025F34: 69E3E2C0
	s_nop 0                                                    // 000000025F38: BF800000
	v_cndmask_b32_e64 v133, v66, v133, s[40:41]                // 000000025F3C: D1000085 00A30B42
	v_cmp_le_u32_e64 s[40:41], v242, v64                       // 000000025F44: D0CB0028 000281F2
	v_add_u32_e32 v242, 64, v242                               // 000000025F4C: 69E5E4C0
	s_nop 0                                                    // 000000025F50: BF800000
	v_cndmask_b32_e64 v134, v66, v134, s[40:41]                // 000000025F54: D1000086 00A30D42
	v_cmp_le_u32_e64 s[40:41], v243, v64                       // 000000025F5C: D0CB0028 000281F3
	v_add_u32_e32 v243, 64, v243                               // 000000025F64: 69E7E6C0
	s_nop 0                                                    // 000000025F68: BF800000
	v_cndmask_b32_e64 v135, v66, v135, s[40:41]                // 000000025F6C: D1000087 00A30F42
	v_cmp_le_u32_e64 s[40:41], v240, v64                       // 000000025F74: D0CB0028 000281F0
	v_add_u32_e32 v240, 64, v240                               // 000000025F7C: 69E1E0C0
	s_nop 0                                                    // 000000025F80: BF800000
	v_cndmask_b32_e64 v136, v66, v136, s[40:41]                // 000000025F84: D1000088 00A31142
	v_cmp_le_u32_e64 s[40:41], v241, v64                       // 000000025F8C: D0CB0028 000281F1
	v_add_u32_e32 v241, 64, v241                               // 000000025F94: 69E3E2C0
	s_nop 0                                                    // 000000025F98: BF800000
	v_cndmask_b32_e64 v137, v66, v137, s[40:41]                // 000000025F9C: D1000089 00A31342
	v_cmp_le_u32_e64 s[40:41], v242, v64                       // 000000025FA4: D0CB0028 000281F2
	v_add_u32_e32 v242, 64, v242                               // 000000025FAC: 69E5E4C0
	s_nop 0                                                    // 000000025FB0: BF800000
	v_cndmask_b32_e64 v138, v66, v138, s[40:41]                // 000000025FB4: D100008A 00A31542
	v_cmp_le_u32_e64 s[40:41], v243, v64                       // 000000025FBC: D0CB0028 000281F3
	v_add_u32_e32 v243, 64, v243                               // 000000025FC4: 69E7E6C0
	s_nop 0                                                    // 000000025FC8: BF800000
	v_cndmask_b32_e64 v139, v66, v139, s[40:41]                // 000000025FCC: D100008B 00A31742
	v_cmp_le_u32_e64 s[40:41], v240, v64                       // 000000025FD4: D0CB0028 000281F0
	v_add_u32_e32 v240, 64, v240                               // 000000025FDC: 69E1E0C0
	s_nop 0                                                    // 000000025FE0: BF800000
	v_cndmask_b32_e64 v140, v66, v140, s[40:41]                // 000000025FE4: D100008C 00A31942
	v_cmp_le_u32_e64 s[40:41], v241, v64                       // 000000025FEC: D0CB0028 000281F1
	v_add_u32_e32 v241, 64, v241                               // 000000025FF4: 69E3E2C0
	s_nop 0                                                    // 000000025FF8: BF800000
	v_cndmask_b32_e64 v141, v66, v141, s[40:41]                // 000000025FFC: D100008D 00A31B42
	v_cmp_le_u32_e64 s[40:41], v242, v64                       // 000000026004: D0CB0028 000281F2
	v_add_u32_e32 v242, 64, v242                               // 00000002600C: 69E5E4C0
	s_nop 0                                                    // 000000026010: BF800000
	v_cndmask_b32_e64 v142, v66, v142, s[40:41]                // 000000026014: D100008E 00A31D42
	v_cmp_le_u32_e64 s[40:41], v243, v64                       // 00000002601C: D0CB0028 000281F3
	v_add_u32_e32 v243, 64, v243                               // 000000026024: 69E7E6C0
	s_nop 0                                                    // 000000026028: BF800000
	v_cndmask_b32_e64 v143, v66, v143, s[40:41]                // 00000002602C: D100008F 00A31F42

0000000000026034 <label_8F8D>:
	v_mov_b32_e32 v48, v128                                    // 000000026034: 7E600380
	v_max3_f32 v48, v128, v129, v48                            // 000000026038: D1D30030 04C30380
	v_max3_f32 v48, v130, v131, v48                            // 000000026040: D1D30030 04C30782
	v_max3_f32 v48, v132, v133, v48                            // 000000026048: D1D30030 04C30B84
	v_max3_f32 v48, v134, v135, v48                            // 000000026050: D1D30030 04C30F86
	v_max3_f32 v48, v136, v137, v48                            // 000000026058: D1D30030 04C31388
	v_max3_f32 v48, v138, v139, v48                            // 000000026060: D1D30030 04C3178A
	v_max3_f32 v48, v140, v141, v48                            // 000000026068: D1D30030 04C31B8C
	v_max3_f32 v48, v142, v143, v48                            // 000000026070: D1D30030 04C31F8E
	ds_write_b32 v8, v48 offset:16896                          // 000000026078: D81A4200 00003008
	v_mul_f32_e32 v216, v50, v216                              // 000000026080: 0BB1B132
	v_mul_f32_e32 v217, v50, v217                              // 000000026084: 0BB3B332
	v_mul_f32_e32 v218, v50, v218                              // 000000026088: 0BB5B532
	v_mul_f32_e32 v219, v50, v219                              // 00000002608C: 0BB7B732
	v_mul_f32_e32 v220, v50, v220                              // 000000026090: 0BB9B932
	v_mul_f32_e32 v221, v50, v221                              // 000000026094: 0BBBBB32
	v_mul_f32_e32 v222, v50, v222                              // 000000026098: 0BBDBD32
	v_mul_f32_e32 v223, v50, v223                              // 00000002609C: 0BBFBF32
	s_waitcnt lgkmcnt(0)                                       // 0000000260A0: BF8CC07F
	s_barrier                                                  // 0000000260A4: BF8A0000
	ds_read_b32 v64, v7 offset:16896                           // 0000000260A8: D86C4200 40000007
	ds_read_b32 v65, v7 offset:16960                           // 0000000260B0: D86C4240 41000007
	ds_read_b32 v66, v7 offset:17024                           // 0000000260B8: D86C4280 42000007
	ds_read_b32 v67, v7 offset:17088                           // 0000000260C0: D86C42C0 43000007
	ds_read_b32 v68, v7 offset:17152                           // 0000000260C8: D86C4300 44000007
	ds_read_b32 v69, v7 offset:17216                           // 0000000260D0: D86C4340 45000007
	ds_read_b32 v70, v7 offset:17280                           // 0000000260D8: D86C4380 46000007
	ds_read_b32 v71, v7 offset:17344                           // 0000000260E0: D86C43C0 47000007
	ds_read_b32 v72, v7 offset:17408                           // 0000000260E8: D86C4400 48000007
	ds_read_b32 v73, v7 offset:17472                           // 0000000260F0: D86C4440 49000007
	ds_read_b32 v74, v7 offset:17536                           // 0000000260F8: D86C4480 4A000007
	ds_read_b32 v75, v7 offset:17600                           // 000000026100: D86C44C0 4B000007
	ds_read_b32 v76, v7 offset:17664                           // 000000026108: D86C4500 4C000007
	ds_read_b32 v77, v7 offset:17728                           // 000000026110: D86C4540 4D000007
	ds_read_b32 v78, v7 offset:17792                           // 000000026118: D86C4580 4E000007
	ds_read_b32 v79, v7 offset:17856                           // 000000026120: D86C45C0 4F000007
	v_cvt_f32_i32_e32 v184, v184                               // 000000026128: 7F700BB8
	v_cvt_f32_i32_e32 v185, v185                               // 00000002612C: 7F720BB9
	v_cvt_f32_i32_e32 v186, v186                               // 000000026130: 7F740BBA
	v_cvt_f32_i32_e32 v187, v187                               // 000000026134: 7F760BBB
	v_cvt_f32_i32_e32 v188, v188                               // 000000026138: 7F780BBC
	v_cvt_f32_i32_e32 v189, v189                               // 00000002613C: 7F7A0BBD
	v_cvt_f32_i32_e32 v190, v190                               // 000000026140: 7F7C0BBE
	v_cvt_f32_i32_e32 v191, v191                               // 000000026144: 7F7E0BBF
	v_mul_f32_e32 v184, v45, v184                              // 000000026148: 0B71712D
	v_mul_f32_e32 v185, v45, v185                              // 00000002614C: 0B73732D
	v_mul_f32_e32 v186, v45, v186                              // 000000026150: 0B75752D
	v_mul_f32_e32 v187, v45, v187                              // 000000026154: 0B77772D
	v_mul_f32_e32 v188, v45, v188                              // 000000026158: 0B79792D
	v_mul_f32_e32 v189, v45, v189                              // 00000002615C: 0B7B7B2D
	v_mul_f32_e32 v190, v45, v190                              // 000000026160: 0B7D7D2D
	v_mul_f32_e32 v191, v45, v191                              // 000000026164: 0B7F7F2D
	s_waitcnt lgkmcnt(0)                                       // 000000026168: BF8CC07F
	v_max3_f32 v48, v64, v65, v48                              // 00000002616C: D1D30030 04C28340
	v_max3_f32 v48, v66, v67, v48                              // 000000026174: D1D30030 04C28742
	v_max3_f32 v48, v68, v69, v48                              // 00000002617C: D1D30030 04C28B44
	v_max3_f32 v48, v70, v71, v48                              // 000000026184: D1D30030 04C28F46
	v_max3_f32 v48, v72, v73, v48                              // 00000002618C: D1D30030 04C29348
	v_max3_f32 v48, v74, v75, v48                              // 000000026194: D1D30030 04C2974A
	v_max3_f32 v48, v76, v77, v48                              // 00000002619C: D1D30030 04C29B4C
	v_max3_f32 v48, v78, v79, v48                              // 0000000261A4: D1D30030 04C29F4E
	v_mov_b32_e32 v64, 0xff800000                              // 0000000261AC: 7E8002FF FF800000
	v_cmp_eq_u32_e64 s[40:41], v64, v12                        // 0000000261B4: D0CA0028 00021940
	s_nop 1                                                    // 0000000261BC: BF800001
	v_max_f32_e32 v15, v48, v12                                // 0000000261C0: 161E1930
	v_mul_f32_e32 v53, s64, v15                                // 0000000261C4: 0A6A1E40
	v_fma_f32 v128, v128, s64, -v53                            // 0000000261C8: D1CB0080 84D48180
	v_fma_f32 v129, v129, s64, -v53                            // 0000000261D0: D1CB0081 84D48181
	v_fma_f32 v130, v130, s64, -v53                            // 0000000261D8: D1CB0082 84D48182
	v_fma_f32 v131, v131, s64, -v53                            // 0000000261E0: D1CB0083 84D48183
	v_fma_f32 v132, v132, s64, -v53                            // 0000000261E8: D1CB0084 84D48184
	v_fma_f32 v133, v133, s64, -v53                            // 0000000261F0: D1CB0085 84D48185
	v_fma_f32 v134, v134, s64, -v53                            // 0000000261F8: D1CB0086 84D48186
	v_fma_f32 v135, v135, s64, -v53                            // 000000026200: D1CB0087 84D48187
	v_fma_f32 v136, v136, s64, -v53                            // 000000026208: D1CB0088 84D48188
	v_fma_f32 v137, v137, s64, -v53                            // 000000026210: D1CB0089 84D48189
	v_fma_f32 v138, v138, s64, -v53                            // 000000026218: D1CB008A 84D4818A
	v_fma_f32 v139, v139, s64, -v53                            // 000000026220: D1CB008B 84D4818B
	v_fma_f32 v140, v140, s64, -v53                            // 000000026228: D1CB008C 84D4818C
	v_fma_f32 v141, v141, s64, -v53                            // 000000026230: D1CB008D 84D4818D
	v_fma_f32 v142, v142, s64, -v53                            // 000000026238: D1CB008E 84D4818E
	v_fma_f32 v143, v143, s64, -v53                            // 000000026240: D1CB008F 84D4818F
	v_exp_f32_e32 v128, v128                                   // 000000026248: 7F004180
	v_exp_f32_e32 v129, v129                                   // 00000002624C: 7F024181
	v_exp_f32_e32 v130, v130                                   // 000000026250: 7F044182
	v_exp_f32_e32 v131, v131                                   // 000000026254: 7F064183
	v_exp_f32_e32 v132, v132                                   // 000000026258: 7F084184
	v_exp_f32_e32 v133, v133                                   // 00000002625C: 7F0A4185
	v_exp_f32_e32 v134, v134                                   // 000000026260: 7F0C4186
	v_exp_f32_e32 v135, v135                                   // 000000026264: 7F0E4187
	v_exp_f32_e32 v136, v136                                   // 000000026268: 7F104188
	v_exp_f32_e32 v137, v137                                   // 00000002626C: 7F124189
	v_exp_f32_e32 v138, v138                                   // 000000026270: 7F14418A
	v_exp_f32_e32 v139, v139                                   // 000000026274: 7F16418B
	v_exp_f32_e32 v140, v140                                   // 000000026278: 7F18418C
	v_exp_f32_e32 v141, v141                                   // 00000002627C: 7F1A418D
	v_exp_f32_e32 v142, v142                                   // 000000026280: 7F1C418E
	v_exp_f32_e32 v143, v143                                   // 000000026284: 7F1E418F
	v_mul_f32_dpp v240, v252, v128 quad_perm:[0,0,0,0] row_mask:0xf bank_mask:0xf// 000000026288: 0BE100FA FF0000FC
	v_mul_f32_dpp v241, v252, v129 quad_perm:[1,1,1,1] row_mask:0xf bank_mask:0xf// 000000026290: 0BE302FA FF0055FC
	v_mul_f32_dpp v242, v252, v130 quad_perm:[2,2,2,2] row_mask:0xf bank_mask:0xf// 000000026298: 0BE504FA FF00AAFC
	v_mul_f32_dpp v243, v252, v131 quad_perm:[3,3,3,3] row_mask:0xf bank_mask:0xf// 0000000262A0: 0BE706FA FF00FFFC
	v_mul_f32_dpp v244, v253, v132 quad_perm:[0,0,0,0] row_mask:0xf bank_mask:0xf// 0000000262A8: 0BE908FA FF0000FD
	v_mul_f32_dpp v245, v253, v133 quad_perm:[1,1,1,1] row_mask:0xf bank_mask:0xf// 0000000262B0: 0BEB0AFA FF0055FD
	v_mul_f32_dpp v246, v253, v134 quad_perm:[2,2,2,2] row_mask:0xf bank_mask:0xf// 0000000262B8: 0BED0CFA FF00AAFD
	v_mul_f32_dpp v247, v253, v135 quad_perm:[3,3,3,3] row_mask:0xf bank_mask:0xf// 0000000262C0: 0BEF0EFA FF00FFFD
	v_mul_f32_dpp v248, v254, v136 quad_perm:[0,0,0,0] row_mask:0xf bank_mask:0xf// 0000000262C8: 0BF110FA FF0000FE
	v_mul_f32_dpp v249, v254, v137 quad_perm:[1,1,1,1] row_mask:0xf bank_mask:0xf// 0000000262D0: 0BF312FA FF0055FE
	v_mul_f32_dpp v250, v254, v138 quad_perm:[2,2,2,2] row_mask:0xf bank_mask:0xf// 0000000262D8: 0BF514FA FF00AAFE
	v_mul_f32_dpp v251, v254, v139 quad_perm:[3,3,3,3] row_mask:0xf bank_mask:0xf// 0000000262E0: 0BF716FA FF00FFFE
	v_mul_f32_dpp v252, v255, v140 quad_perm:[0,0,0,0] row_mask:0xf bank_mask:0xf// 0000000262E8: 0BF918FA FF0000FF
	v_mul_f32_dpp v253, v255, v141 quad_perm:[1,1,1,1] row_mask:0xf bank_mask:0xf// 0000000262F0: 0BFB1AFA FF0055FF
	v_mul_f32_dpp v254, v255, v142 quad_perm:[2,2,2,2] row_mask:0xf bank_mask:0xf// 0000000262F8: 0BFD1CFA FF00AAFF
	v_mul_f32_dpp v255, v255, v143 quad_perm:[3,3,3,3] row_mask:0xf bank_mask:0xf// 000000026300: 0BFF1EFA FF00FFFF
	v_mov_b32_e32 v48, 0x358637bd                              // 000000026308: 7E6002FF 358637BD
	v_max3_f32 v48, |v240|, |v241|, v48                        // 000000026310: D1D30330 04C3E3F0
	v_max3_f32 v48, |v242|, |v243|, v48                        // 000000026318: D1D30330 04C3E7F2
	v_max3_f32 v48, |v244|, |v245|, v48                        // 000000026320: D1D30330 04C3EBF4
	v_max3_f32 v48, |v246|, |v247|, v48                        // 000000026328: D1D30330 04C3EFF6
	v_max3_f32 v48, |v248|, |v249|, v48                        // 000000026330: D1D30330 04C3F3F8
	v_max3_f32 v48, |v250|, |v251|, v48                        // 000000026338: D1D30330 04C3F7FA
	v_max3_f32 v48, |v252|, |v253|, v48                        // 000000026340: D1D30330 04C3FBFC
	v_max3_f32 v48, |v254|, |v255|, v48                        // 000000026348: D1D30330 04C3FFFE
	ds_write_b32 v8, v48 offset:20992                          // 000000026350: D81A5200 00003008
	v_sub_f32_e32 v50, v12, v15                                // 000000026358: 04641F0C
	v_cndmask_b32_e64 v50, v50, 0, s[40:41]                    // 00000002635C: D1000032 00A10132
	v_mov_b32_e32 v12, v15                                     // 000000026364: 7E18030F
	v_mul_f32_e32 v50, s64, v50                                // 000000026368: 0A646440
	v_exp_f32_e32 v50, v50                                     // 00000002636C: 7E644132
	s_waitcnt lgkmcnt(0)                                       // 000000026370: BF8CC07F
	s_barrier                                                  // 000000026374: BF8A0000
	ds_read_b32 v64, v7 offset:20992                           // 000000026378: D86C5200 40000007
	ds_read_b32 v65, v7 offset:21056                           // 000000026380: D86C5240 41000007
	ds_read_b32 v66, v7 offset:21120                           // 000000026388: D86C5280 42000007
	ds_read_b32 v67, v7 offset:21184                           // 000000026390: D86C52C0 43000007
	ds_read_b32 v68, v7 offset:21248                           // 000000026398: D86C5300 44000007
	ds_read_b32 v69, v7 offset:21312                           // 0000000263A0: D86C5340 45000007
	ds_read_b32 v70, v7 offset:21376                           // 0000000263A8: D86C5380 46000007
	ds_read_b32 v71, v7 offset:21440                           // 0000000263B0: D86C53C0 47000007
	ds_read_b32 v72, v7 offset:21504                           // 0000000263B8: D86C5400 48000007
	ds_read_b32 v73, v7 offset:21568                           // 0000000263C0: D86C5440 49000007
	ds_read_b32 v74, v7 offset:21632                           // 0000000263C8: D86C5480 4A000007
	ds_read_b32 v75, v7 offset:21696                           // 0000000263D0: D86C54C0 4B000007
	ds_read_b32 v76, v7 offset:21760                           // 0000000263D8: D86C5500 4C000007
	ds_read_b32 v77, v7 offset:21824                           // 0000000263E0: D86C5540 4D000007
	ds_read_b32 v78, v7 offset:21888                           // 0000000263E8: D86C5580 4E000007
	ds_read_b32 v79, v7 offset:21952                           // 0000000263F0: D86C55C0 4F000007
	v_mul_f32_e32 v39, v50, v39                                // 0000000263F8: 0A4E4F32
	v_mov_b32_e32 v15, v128                                    // 0000000263FC: 7E1E0380
	v_add_f32_e32 v15, v129, v15                               // 000000026400: 021E1F81
	v_add_f32_e32 v15, v130, v15                               // 000000026404: 021E1F82
	v_add_f32_e32 v15, v131, v15                               // 000000026408: 021E1F83
	v_add_f32_e32 v15, v132, v15                               // 00000002640C: 021E1F84
	v_add_f32_e32 v15, v133, v15                               // 000000026410: 021E1F85
	v_add_f32_e32 v15, v134, v15                               // 000000026414: 021E1F86
	v_add_f32_e32 v15, v135, v15                               // 000000026418: 021E1F87
	v_add_f32_e32 v15, v136, v15                               // 00000002641C: 021E1F88
	v_add_f32_e32 v15, v137, v15                               // 000000026420: 021E1F89
	v_add_f32_e32 v15, v138, v15                               // 000000026424: 021E1F8A
	v_add_f32_e32 v15, v139, v15                               // 000000026428: 021E1F8B
	v_add_f32_e32 v15, v140, v15                               // 00000002642C: 021E1F8C
	v_add_f32_e32 v15, v141, v15                               // 000000026430: 021E1F8D
	v_add_f32_e32 v15, v142, v15                               // 000000026434: 021E1F8E
	v_add_f32_e32 v15, v143, v15                               // 000000026438: 021E1F8F
	v_add_f32_e32 v39, v15, v39                                // 00000002643C: 024E4F0F
	s_waitcnt lgkmcnt(0)                                       // 000000026440: BF8CC07F
	v_max3_f32 v48, |v64|, |v65|, v48                          // 000000026444: D1D30330 04C28340
	v_max3_f32 v48, |v66|, |v67|, v48                          // 00000002644C: D1D30330 04C28742
	v_max3_f32 v48, |v68|, |v69|, v48                          // 000000026454: D1D30330 04C28B44
	v_max3_f32 v48, |v70|, |v71|, v48                          // 00000002645C: D1D30330 04C28F46
	v_max3_f32 v48, |v72|, |v73|, v48                          // 000000026464: D1D30330 04C29348
	v_max3_f32 v48, |v74|, |v75|, v48                          // 00000002646C: D1D30330 04C2974A
	v_max3_f32 v48, |v76|, |v77|, v48                          // 000000026474: D1D30330 04C29B4C
	v_max3_f32 v48, |v78|, |v79|, v48                          // 00000002647C: D1D30330 04C29F4E
	s_nop 2                                                    // 000000026484: BF800002
	v_rcp_f32_e32 v48, v48                                     // 000000026488: 7E604530
	s_nop 1                                                    // 00000002648C: BF800001
	v_mul_f32_e32 v48, 0x42fe0000, v48                         // 000000026490: 0A6060FF 42FE0000
	v_mul_f32_e32 v128, v48, v240                              // 000000026498: 0B01E130
	v_mul_f32_e32 v129, v48, v241                              // 00000002649C: 0B03E330
	v_mul_f32_e32 v130, v48, v242                              // 0000000264A0: 0B05E530
	v_mul_f32_e32 v131, v48, v243                              // 0000000264A4: 0B07E730
	v_mul_f32_e32 v132, v48, v244                              // 0000000264A8: 0B09E930
	v_mul_f32_e32 v133, v48, v245                              // 0000000264AC: 0B0BEB30
	v_mul_f32_e32 v134, v48, v246                              // 0000000264B0: 0B0DED30
	v_mul_f32_e32 v135, v48, v247                              // 0000000264B4: 0B0FEF30
	v_mul_f32_e32 v136, v48, v248                              // 0000000264B8: 0B11F130
	v_mul_f32_e32 v137, v48, v249                              // 0000000264BC: 0B13F330
	v_mul_f32_e32 v138, v48, v250                              // 0000000264C0: 0B15F530
	v_mul_f32_e32 v139, v48, v251                              // 0000000264C4: 0B17F730
	v_mul_f32_e32 v140, v48, v252                              // 0000000264C8: 0B19F930
	v_mul_f32_e32 v141, v48, v253                              // 0000000264CC: 0B1BFB30
	v_mul_f32_e32 v142, v48, v254                              // 0000000264D0: 0B1DFD30
	v_mul_f32_e32 v143, v48, v255                              // 0000000264D4: 0B1FFF30
	v_cvt_i32_f32_e32 v128, v128                               // 0000000264D8: 7F001180
	v_cvt_i32_f32_e32 v129, v129                               // 0000000264DC: 7F021181
	v_cvt_i32_f32_e32 v130, v130                               // 0000000264E0: 7F041182
	v_cvt_i32_f32_e32 v131, v131                               // 0000000264E4: 7F061183
	v_cvt_i32_f32_e32 v132, v132                               // 0000000264E8: 7F081184
	v_cvt_i32_f32_e32 v133, v133                               // 0000000264EC: 7F0A1185
	v_cvt_i32_f32_e32 v134, v134                               // 0000000264F0: 7F0C1186
	v_cvt_i32_f32_e32 v135, v135                               // 0000000264F4: 7F0E1187
	v_cvt_i32_f32_e32 v136, v136                               // 0000000264F8: 7F101188
	v_cvt_i32_f32_e32 v137, v137                               // 0000000264FC: 7F121189
	v_cvt_i32_f32_e32 v138, v138                               // 000000026500: 7F14118A
	v_cvt_i32_f32_e32 v139, v139                               // 000000026504: 7F16118B
	v_cvt_i32_f32_e32 v140, v140                               // 000000026508: 7F18118C
	v_cvt_i32_f32_e32 v141, v141                               // 00000002650C: 7F1A118D
	v_cvt_i32_f32_e32 v142, v142                               // 000000026510: 7F1C118E
	v_cvt_i32_f32_e32 v143, v143                               // 000000026514: 7F1E118F
	v_perm_b32 v128, v129, v128, s53                           // 000000026518: D1ED0080 00D70181
	v_perm_b32 v128, v130, v128, s54                           // 000000026520: D1ED0080 00DB0182
	v_perm_b32 v128, v131, v128, s55                           // 000000026528: D1ED0080 00DF0183
	v_perm_b32 v129, v133, v132, s53                           // 000000026530: D1ED0081 00D70985
	v_perm_b32 v129, v134, v129, s54                           // 000000026538: D1ED0081 00DB0386
	v_perm_b32 v129, v135, v129, s55                           // 000000026540: D1ED0081 00DF0387
	v_perm_b32 v130, v137, v136, s53                           // 000000026548: D1ED0082 00D71189
	v_perm_b32 v130, v138, v130, s54                           // 000000026550: D1ED0082 00DB058A
	v_perm_b32 v130, v139, v130, s55                           // 000000026558: D1ED0082 00DF058B
	v_perm_b32 v131, v141, v140, s53                           // 000000026560: D1ED0083 00D7198D
	v_perm_b32 v131, v142, v131, s54                           // 000000026568: D1ED0083 00DB078E
	v_perm_b32 v131, v143, v131, s55                           // 000000026570: D1ED0083 00DF078F
	ds_write_b32 v10, v128 offset:29184                        // 000000026578: D81A7200 0000800A
	ds_write_b32 v10, v129 offset:30208                        // 000000026580: D81A7600 0000810A
	ds_write_b32 v10, v130 offset:31232                        // 000000026588: D81A7A00 0000820A
	ds_write_b32 v10, v131 offset:32256                        // 000000026590: D81A7E00 0000830A
	v_add_f32_e32 v216, v216, v184                             // 000000026598: 03B171D8
	v_add_f32_e32 v217, v217, v185                             // 00000002659C: 03B373D9
	v_add_f32_e32 v218, v218, v186                             // 0000000265A0: 03B575DA
	v_add_f32_e32 v219, v219, v187                             // 0000000265A4: 03B777DB
	v_add_f32_e32 v220, v220, v188                             // 0000000265A8: 03B979DC
	v_add_f32_e32 v221, v221, v189                             // 0000000265AC: 03BB7BDD
	v_add_f32_e32 v222, v222, v190                             // 0000000265B0: 03BD7DDE
	v_add_f32_e32 v223, v223, v191                             // 0000000265B4: 03BF7FDF
	v_rcp_f32_e32 v45, v48                                     // 0000000265B8: 7E5A4530
	s_waitcnt lgkmcnt(0)                                       // 0000000265BC: BF8CC07F
	s_barrier                                                  // 0000000265C0: BF8A0000
	ds_read_b64 v[128:129], v9 offset:29184                    // 0000000265C4: D8EC7200 80000009
	ds_read_b64 v[130:131], v9 offset:29312                    // 0000000265CC: D8EC7280 82000009
	ds_read_b64 v[132:133], v9 offset:30208                    // 0000000265D4: D8EC7600 84000009
	ds_read_b64 v[134:135], v9 offset:30336                    // 0000000265DC: D8EC7680 86000009
	ds_read_b64 v[136:137], v9 offset:31232                    // 0000000265E4: D8EC7A00 88000009
	ds_read_b64 v[138:139], v9 offset:31360                    // 0000000265EC: D8EC7A80 8A000009
	ds_read_b64 v[140:141], v9 offset:32256                    // 0000000265F4: D8EC7E00 8C000009
	ds_read_b64 v[142:143], v9 offset:32384                    // 0000000265FC: D8EC7E80 8E000009
	v_mov_b32_dpp v64, v42 row_shr:4 row_mask:0xf bank_mask:0xf// 000000026604: 7E8002FA FF01142A
	v_mov_b32_dpp v65, v42 row_shl:4 row_mask:0xf bank_mask:0xf// 00000002660C: 7E8202FA FF01042A
	v_cndmask_b32_e64 v248, v42, v64, s[44:45]                 // 000000026614: D10000F8 00B2812A
	v_cndmask_b32_e64 v249, v65, v42, s[44:45]                 // 00000002661C: D10000F9 00B25541
	v_mov_b32_dpp v64, v248 row_shr:8 row_mask:0xf bank_mask:0xf// 000000026624: 7E8002FA FF0118F8
	v_mov_b32_dpp v65, v248 row_shl:8 row_mask:0xf bank_mask:0xf// 00000002662C: 7E8202FA FF0108F8
	v_mov_b32_dpp v66, v249 row_shr:8 row_mask:0xf bank_mask:0xf// 000000026634: 7E8402FA FF0118F9
	v_mov_b32_dpp v67, v249 row_shl:8 row_mask:0xf bank_mask:0xf// 00000002663C: 7E8602FA FF0108F9
	v_mov_b32_e32 v68, v248                                    // 000000026644: 7E8803F8
	v_mov_b32_e32 v69, v249                                    // 000000026648: 7E8A03F9
	v_cndmask_b32_e64 v248, v68, v64, s[42:43]                 // 00000002664C: D10000F8 00AA8144
	v_cndmask_b32_e64 v250, v68, v65, s[78:79]                 // 000000026654: D10000FA 013A8344
	v_cndmask_b32_e64 v249, v69, v66, s[42:43]                 // 00000002665C: D10000F9 00AA8545
	v_cndmask_b32_e64 v251, v69, v67, s[78:79]                 // 000000026664: D10000FB 013A8745
	v_mov_b32_dpp v64, v57 row_shr:4 row_mask:0xf bank_mask:0xf// 00000002666C: 7E8002FA FF011439
	v_mov_b32_dpp v65, v57 row_shl:4 row_mask:0xf bank_mask:0xf// 000000026674: 7E8202FA FF010439
	v_cndmask_b32_e64 v252, v57, v64, s[44:45]                 // 00000002667C: D10000FC 00B28139
	v_cndmask_b32_e64 v253, v65, v57, s[44:45]                 // 000000026684: D10000FD 00B27341
	v_mov_b32_dpp v64, v252 row_shr:8 row_mask:0xf bank_mask:0xf// 00000002668C: 7E8002FA FF0118FC
	v_mov_b32_dpp v65, v252 row_shl:8 row_mask:0xf bank_mask:0xf// 000000026694: 7E8202FA FF0108FC
	v_mov_b32_dpp v66, v253 row_shr:8 row_mask:0xf bank_mask:0xf// 00000002669C: 7E8402FA FF0118FD
	v_mov_b32_dpp v67, v253 row_shl:8 row_mask:0xf bank_mask:0xf// 0000000266A4: 7E8602FA FF0108FD
	v_mov_b32_e32 v68, v252                                    // 0000000266AC: 7E8803FC
	v_mov_b32_e32 v69, v253                                    // 0000000266B0: 7E8A03FD
	v_cndmask_b32_e64 v252, v68, v64, s[42:43]                 // 0000000266B4: D10000FC 00AA8144
	v_cndmask_b32_e64 v254, v68, v65, s[78:79]                 // 0000000266BC: D10000FE 013A8344
	v_cndmask_b32_e64 v253, v69, v66, s[42:43]                 // 0000000266C4: D10000FD 00AA8545
	v_cndmask_b32_e64 v255, v69, v67, s[78:79]                 // 0000000266CC: D10000FF 013A8745
	v_cvt_f32_i32_e32 v144, v144                               // 0000000266D4: 7F200B90
	v_cvt_f32_i32_e32 v145, v145                               // 0000000266D8: 7F220B91
	v_cvt_f32_i32_e32 v146, v146                               // 0000000266DC: 7F240B92
	v_cvt_f32_i32_e32 v147, v147                               // 0000000266E0: 7F260B93
	v_cvt_f32_i32_e32 v148, v148                               // 0000000266E4: 7F280B94
	v_cvt_f32_i32_e32 v149, v149                               // 0000000266E8: 7F2A0B95
	v_cvt_f32_i32_e32 v150, v150                               // 0000000266EC: 7F2C0B96
	v_cvt_f32_i32_e32 v151, v151                               // 0000000266F0: 7F2E0B97
	v_cvt_f32_i32_e32 v152, v152                               // 0000000266F4: 7F300B98
	v_cvt_f32_i32_e32 v153, v153                               // 0000000266F8: 7F320B99
	v_cvt_f32_i32_e32 v154, v154                               // 0000000266FC: 7F340B9A
	v_cvt_f32_i32_e32 v155, v155                               // 000000026700: 7F360B9B
	v_cvt_f32_i32_e32 v156, v156                               // 000000026704: 7F380B9C
	v_cvt_f32_i32_e32 v157, v157                               // 000000026708: 7F3A0B9D
	v_cvt_f32_i32_e32 v158, v158                               // 00000002670C: 7F3C0B9E
	v_cvt_f32_i32_e32 v159, v159                               // 000000026710: 7F3E0B9F
	v_mul_f32_e32 v144, v20, v144                              // 000000026714: 0B212114
	v_mul_f32_e32 v145, v20, v145                              // 000000026718: 0B232314
	v_mul_f32_e32 v146, v20, v146                              // 00000002671C: 0B252514
	v_mul_f32_e32 v147, v20, v147                              // 000000026720: 0B272714
	v_mul_f32_e32 v148, v20, v148                              // 000000026724: 0B292914
	v_mul_f32_e32 v149, v20, v149                              // 000000026728: 0B2B2B14
	v_mul_f32_e32 v150, v20, v150                              // 00000002672C: 0B2D2D14
	v_mul_f32_e32 v151, v20, v151                              // 000000026730: 0B2F2F14
	v_mul_f32_e32 v152, v20, v152                              // 000000026734: 0B313114
	v_mul_f32_e32 v153, v20, v153                              // 000000026738: 0B333314
	v_mul_f32_e32 v154, v20, v154                              // 00000002673C: 0B353514
	v_mul_f32_e32 v155, v20, v155                              // 000000026740: 0B373714
	v_mul_f32_e32 v156, v20, v156                              // 000000026744: 0B393914
	v_mul_f32_e32 v157, v20, v157                              // 000000026748: 0B3B3B14
	v_mul_f32_e32 v158, v20, v158                              // 00000002674C: 0B3D3D14
	v_mul_f32_e32 v159, v20, v159                              // 000000026750: 0B3F3F14
	v_mul_f32_dpp v144, v248, v144 quad_perm:[0,0,0,0] row_mask:0xf bank_mask:0xf// 000000026754: 0B2120FA FF0000F8
	v_mul_f32_dpp v145, v248, v145 quad_perm:[1,1,1,1] row_mask:0xf bank_mask:0xf// 00000002675C: 0B2322FA FF0055F8
	v_mul_f32_dpp v146, v248, v146 quad_perm:[2,2,2,2] row_mask:0xf bank_mask:0xf// 000000026764: 0B2524FA FF00AAF8
	v_mul_f32_dpp v147, v248, v147 quad_perm:[3,3,3,3] row_mask:0xf bank_mask:0xf// 00000002676C: 0B2726FA FF00FFF8
	v_mul_f32_dpp v148, v249, v148 quad_perm:[0,0,0,0] row_mask:0xf bank_mask:0xf// 000000026774: 0B2928FA FF0000F9
	v_mul_f32_dpp v149, v249, v149 quad_perm:[1,1,1,1] row_mask:0xf bank_mask:0xf// 00000002677C: 0B2B2AFA FF0055F9
	v_mul_f32_dpp v150, v249, v150 quad_perm:[2,2,2,2] row_mask:0xf bank_mask:0xf// 000000026784: 0B2D2CFA FF00AAF9
	v_mul_f32_dpp v151, v249, v151 quad_perm:[3,3,3,3] row_mask:0xf bank_mask:0xf// 00000002678C: 0B2F2EFA FF00FFF9
	v_mul_f32_dpp v152, v250, v152 quad_perm:[0,0,0,0] row_mask:0xf bank_mask:0xf// 000000026794: 0B3130FA FF0000FA
	v_mul_f32_dpp v153, v250, v153 quad_perm:[1,1,1,1] row_mask:0xf bank_mask:0xf// 00000002679C: 0B3332FA FF0055FA
	v_mul_f32_dpp v154, v250, v154 quad_perm:[2,2,2,2] row_mask:0xf bank_mask:0xf// 0000000267A4: 0B3534FA FF00AAFA
	v_mul_f32_dpp v155, v250, v155 quad_perm:[3,3,3,3] row_mask:0xf bank_mask:0xf// 0000000267AC: 0B3736FA FF00FFFA
	v_mul_f32_dpp v156, v251, v156 quad_perm:[0,0,0,0] row_mask:0xf bank_mask:0xf// 0000000267B4: 0B3938FA FF0000FB
	v_mul_f32_dpp v157, v251, v157 quad_perm:[1,1,1,1] row_mask:0xf bank_mask:0xf// 0000000267BC: 0B3B3AFA FF0055FB
	v_mul_f32_dpp v158, v251, v158 quad_perm:[2,2,2,2] row_mask:0xf bank_mask:0xf// 0000000267C4: 0B3D3CFA FF00AAFB
	v_mul_f32_dpp v159, v251, v159 quad_perm:[3,3,3,3] row_mask:0xf bank_mask:0xf// 0000000267CC: 0B3F3EFA FF00FFFB
	s_cmp_le_i32 s90, s89                                      // 0000000267D4: BF05595A
	s_cbranch_scc1 label_91E8                                  // 0000000267D8: BF850071
	v_mov_b32_e32 v66, 0xff800000                              // 0000000267DC: 7E8402FF FF800000
	s_mov_b32 s60, s90                                         // 0000000267E4: BEBC005A
	s_add_u32 s61, s89, 0xff                                   // 0000000267E8: 803DFF59 000000FF
	v_mov_b32_e32 v64, s61                                     // 0000000267F0: 7E80023D
	v_lshrrev_b32_e32 v240, 4, v0                              // 0000000267F4: 21E00084
	v_mul_i32_i24_e32 v240, 4, v240                            // 0000000267F8: 0DE1E084
	v_add_u32_e32 v240, s60, v240                              // 0000000267FC: 69E1E03C
	s_mov_b32 s61, 2                                           // 000000026800: BEBD0082
	s_mul_i32 s60, 16, s7                                      // 000000026804: 923C0790
	v_sub_u32_e64 v240, v240, s61                              // 000000026808: D13500F0 00007BF0
	v_add_u32_e32 v240, s60, v240                              // 000000026810: 69E1E03C
	v_add_u32_e32 v241, 1, v240                                // 000000026814: 69E3E081
	v_add_u32_e32 v242, 2, v240                                // 000000026818: 69E5E082
	v_add_u32_e32 v243, 3, v240                                // 00000002681C: 69E7E083
	v_cmp_le_u32_e64 s[40:41], v240, v64                       // 000000026820: D0CB0028 000281F0
	v_add_u32_e32 v240, 64, v240                               // 000000026828: 69E1E0C0
	s_nop 0                                                    // 00000002682C: BF800000
	v_cndmask_b32_e64 v144, v66, v144, s[40:41]                // 000000026830: D1000090 00A32142
	v_cmp_le_u32_e64 s[40:41], v241, v64                       // 000000026838: D0CB0028 000281F1
	v_add_u32_e32 v241, 64, v241                               // 000000026840: 69E3E2C0
	s_nop 0                                                    // 000000026844: BF800000
	v_cndmask_b32_e64 v145, v66, v145, s[40:41]                // 000000026848: D1000091 00A32342
	v_cmp_le_u32_e64 s[40:41], v242, v64                       // 000000026850: D0CB0028 000281F2
	v_add_u32_e32 v242, 64, v242                               // 000000026858: 69E5E4C0
	s_nop 0                                                    // 00000002685C: BF800000
	v_cndmask_b32_e64 v146, v66, v146, s[40:41]                // 000000026860: D1000092 00A32542
	v_cmp_le_u32_e64 s[40:41], v243, v64                       // 000000026868: D0CB0028 000281F3
	v_add_u32_e32 v243, 64, v243                               // 000000026870: 69E7E6C0
	s_nop 0                                                    // 000000026874: BF800000
	v_cndmask_b32_e64 v147, v66, v147, s[40:41]                // 000000026878: D1000093 00A32742
	v_cmp_le_u32_e64 s[40:41], v240, v64                       // 000000026880: D0CB0028 000281F0
	v_add_u32_e32 v240, 64, v240                               // 000000026888: 69E1E0C0
	s_nop 0                                                    // 00000002688C: BF800000
	v_cndmask_b32_e64 v148, v66, v148, s[40:41]                // 000000026890: D1000094 00A32942
	v_cmp_le_u32_e64 s[40:41], v241, v64                       // 000000026898: D0CB0028 000281F1
	v_add_u32_e32 v241, 64, v241                               // 0000000268A0: 69E3E2C0
	s_nop 0                                                    // 0000000268A4: BF800000
	v_cndmask_b32_e64 v149, v66, v149, s[40:41]                // 0000000268A8: D1000095 00A32B42
	v_cmp_le_u32_e64 s[40:41], v242, v64                       // 0000000268B0: D0CB0028 000281F2
	v_add_u32_e32 v242, 64, v242                               // 0000000268B8: 69E5E4C0
	s_nop 0                                                    // 0000000268BC: BF800000
	v_cndmask_b32_e64 v150, v66, v150, s[40:41]                // 0000000268C0: D1000096 00A32D42
	v_cmp_le_u32_e64 s[40:41], v243, v64                       // 0000000268C8: D0CB0028 000281F3
	v_add_u32_e32 v243, 64, v243                               // 0000000268D0: 69E7E6C0
	s_nop 0                                                    // 0000000268D4: BF800000
	v_cndmask_b32_e64 v151, v66, v151, s[40:41]                // 0000000268D8: D1000097 00A32F42
	v_cmp_le_u32_e64 s[40:41], v240, v64                       // 0000000268E0: D0CB0028 000281F0
	v_add_u32_e32 v240, 64, v240                               // 0000000268E8: 69E1E0C0
	s_nop 0                                                    // 0000000268EC: BF800000
	v_cndmask_b32_e64 v152, v66, v152, s[40:41]                // 0000000268F0: D1000098 00A33142
	v_cmp_le_u32_e64 s[40:41], v241, v64                       // 0000000268F8: D0CB0028 000281F1
	v_add_u32_e32 v241, 64, v241                               // 000000026900: 69E3E2C0
	s_nop 0                                                    // 000000026904: BF800000
	v_cndmask_b32_e64 v153, v66, v153, s[40:41]                // 000000026908: D1000099 00A33342
	v_cmp_le_u32_e64 s[40:41], v242, v64                       // 000000026910: D0CB0028 000281F2
	v_add_u32_e32 v242, 64, v242                               // 000000026918: 69E5E4C0
	s_nop 0                                                    // 00000002691C: BF800000
	v_cndmask_b32_e64 v154, v66, v154, s[40:41]                // 000000026920: D100009A 00A33542
	v_cmp_le_u32_e64 s[40:41], v243, v64                       // 000000026928: D0CB0028 000281F3
	v_add_u32_e32 v243, 64, v243                               // 000000026930: 69E7E6C0
	s_nop 0                                                    // 000000026934: BF800000
	v_cndmask_b32_e64 v155, v66, v155, s[40:41]                // 000000026938: D100009B 00A33742
	v_cmp_le_u32_e64 s[40:41], v240, v64                       // 000000026940: D0CB0028 000281F0
	v_add_u32_e32 v240, 64, v240                               // 000000026948: 69E1E0C0
	s_nop 0                                                    // 00000002694C: BF800000
	v_cndmask_b32_e64 v156, v66, v156, s[40:41]                // 000000026950: D100009C 00A33942
	v_cmp_le_u32_e64 s[40:41], v241, v64                       // 000000026958: D0CB0028 000281F1
	v_add_u32_e32 v241, 64, v241                               // 000000026960: 69E3E2C0
	s_nop 0                                                    // 000000026964: BF800000
	v_cndmask_b32_e64 v157, v66, v157, s[40:41]                // 000000026968: D100009D 00A33B42
	v_cmp_le_u32_e64 s[40:41], v242, v64                       // 000000026970: D0CB0028 000281F2
	v_add_u32_e32 v242, 64, v242                               // 000000026978: 69E5E4C0
	s_nop 0                                                    // 00000002697C: BF800000
	v_cndmask_b32_e64 v158, v66, v158, s[40:41]                // 000000026980: D100009E 00A33D42
	v_cmp_le_u32_e64 s[40:41], v243, v64                       // 000000026988: D0CB0028 000281F3
	v_add_u32_e32 v243, 64, v243                               // 000000026990: 69E7E6C0
	s_nop 0                                                    // 000000026994: BF800000
	v_cndmask_b32_e64 v159, v66, v159, s[40:41]                // 000000026998: D100009F 00A33F42

00000000000269a0 <label_91E8>:
	v_mov_b32_e32 v48, v144                                    // 0000000269A0: 7E600390
	v_max3_f32 v48, v144, v145, v48                            // 0000000269A4: D1D30030 04C32390
	v_max3_f32 v48, v146, v147, v48                            // 0000000269AC: D1D30030 04C32792
	v_max3_f32 v48, v148, v149, v48                            // 0000000269B4: D1D30030 04C32B94
	v_max3_f32 v48, v150, v151, v48                            // 0000000269BC: D1D30030 04C32F96
	v_max3_f32 v48, v152, v153, v48                            // 0000000269C4: D1D30030 04C33398
	v_max3_f32 v48, v154, v155, v48                            // 0000000269CC: D1D30030 04C3379A
	v_max3_f32 v48, v156, v157, v48                            // 0000000269D4: D1D30030 04C33B9C
	v_max3_f32 v48, v158, v159, v48                            // 0000000269DC: D1D30030 04C33F9E
	ds_write_b32 v8, v48 offset:16896                          // 0000000269E4: D81A4200 00003008
	v_mul_f32_e32 v224, v51, v224                              // 0000000269EC: 0BC1C133
	v_mul_f32_e32 v225, v51, v225                              // 0000000269F0: 0BC3C333
	v_mul_f32_e32 v226, v51, v226                              // 0000000269F4: 0BC5C533
	v_mul_f32_e32 v227, v51, v227                              // 0000000269F8: 0BC7C733
	v_mul_f32_e32 v228, v51, v228                              // 0000000269FC: 0BC9C933
	v_mul_f32_e32 v229, v51, v229                              // 000000026A00: 0BCBCB33
	v_mul_f32_e32 v230, v51, v230                              // 000000026A04: 0BCDCD33
	v_mul_f32_e32 v231, v51, v231                              // 000000026A08: 0BCFCF33
	s_waitcnt lgkmcnt(0)                                       // 000000026A0C: BF8CC07F
	s_barrier                                                  // 000000026A10: BF8A0000
	ds_read_b32 v64, v7 offset:16896                           // 000000026A14: D86C4200 40000007
	ds_read_b32 v65, v7 offset:16960                           // 000000026A1C: D86C4240 41000007
	ds_read_b32 v66, v7 offset:17024                           // 000000026A24: D86C4280 42000007
	ds_read_b32 v67, v7 offset:17088                           // 000000026A2C: D86C42C0 43000007
	ds_read_b32 v68, v7 offset:17152                           // 000000026A34: D86C4300 44000007
	ds_read_b32 v69, v7 offset:17216                           // 000000026A3C: D86C4340 45000007
	ds_read_b32 v70, v7 offset:17280                           // 000000026A44: D86C4380 46000007
	ds_read_b32 v71, v7 offset:17344                           // 000000026A4C: D86C43C0 47000007
	ds_read_b32 v72, v7 offset:17408                           // 000000026A54: D86C4400 48000007
	ds_read_b32 v73, v7 offset:17472                           // 000000026A5C: D86C4440 49000007
	ds_read_b32 v74, v7 offset:17536                           // 000000026A64: D86C4480 4A000007
	ds_read_b32 v75, v7 offset:17600                           // 000000026A6C: D86C44C0 4B000007
	ds_read_b32 v76, v7 offset:17664                           // 000000026A74: D86C4500 4C000007
	ds_read_b32 v77, v7 offset:17728                           // 000000026A7C: D86C4540 4D000007
	ds_read_b32 v78, v7 offset:17792                           // 000000026A84: D86C4580 4E000007
	ds_read_b32 v79, v7 offset:17856                           // 000000026A8C: D86C45C0 4F000007
	v_cvt_f32_i32_e32 v192, v192                               // 000000026A94: 7F800BC0
	v_cvt_f32_i32_e32 v193, v193                               // 000000026A98: 7F820BC1
	v_cvt_f32_i32_e32 v194, v194                               // 000000026A9C: 7F840BC2
	v_cvt_f32_i32_e32 v195, v195                               // 000000026AA0: 7F860BC3
	v_cvt_f32_i32_e32 v196, v196                               // 000000026AA4: 7F880BC4
	v_cvt_f32_i32_e32 v197, v197                               // 000000026AA8: 7F8A0BC5
	v_cvt_f32_i32_e32 v198, v198                               // 000000026AAC: 7F8C0BC6
	v_cvt_f32_i32_e32 v199, v199                               // 000000026AB0: 7F8E0BC7
	v_mul_f32_e32 v192, v46, v192                              // 000000026AB4: 0B81812E
	v_mul_f32_e32 v193, v46, v193                              // 000000026AB8: 0B83832E
	v_mul_f32_e32 v194, v46, v194                              // 000000026ABC: 0B85852E
	v_mul_f32_e32 v195, v46, v195                              // 000000026AC0: 0B87872E
	v_mul_f32_e32 v196, v46, v196                              // 000000026AC4: 0B89892E
	v_mul_f32_e32 v197, v46, v197                              // 000000026AC8: 0B8B8B2E
	v_mul_f32_e32 v198, v46, v198                              // 000000026ACC: 0B8D8D2E
	v_mul_f32_e32 v199, v46, v199                              // 000000026AD0: 0B8F8F2E
	s_waitcnt lgkmcnt(0)                                       // 000000026AD4: BF8CC07F
	v_max3_f32 v48, v64, v65, v48                              // 000000026AD8: D1D30030 04C28340
	v_max3_f32 v48, v66, v67, v48                              // 000000026AE0: D1D30030 04C28742
	v_max3_f32 v48, v68, v69, v48                              // 000000026AE8: D1D30030 04C28B44
	v_max3_f32 v48, v70, v71, v48                              // 000000026AF0: D1D30030 04C28F46
	v_max3_f32 v48, v72, v73, v48                              // 000000026AF8: D1D30030 04C29348
	v_max3_f32 v48, v74, v75, v48                              // 000000026B00: D1D30030 04C2974A
	v_max3_f32 v48, v76, v77, v48                              // 000000026B08: D1D30030 04C29B4C
	v_max3_f32 v48, v78, v79, v48                              // 000000026B10: D1D30030 04C29F4E
	v_mov_b32_e32 v64, 0xff800000                              // 000000026B18: 7E8002FF FF800000
	v_cmp_eq_u32_e64 s[40:41], v64, v13                        // 000000026B20: D0CA0028 00021B40
	s_nop 1                                                    // 000000026B28: BF800001
	v_max_f32_e32 v15, v48, v13                                // 000000026B2C: 161E1B30
	v_mul_f32_e32 v53, s64, v15                                // 000000026B30: 0A6A1E40
	v_fma_f32 v144, v144, s64, -v53                            // 000000026B34: D1CB0090 84D48190
	v_fma_f32 v145, v145, s64, -v53                            // 000000026B3C: D1CB0091 84D48191
	v_fma_f32 v146, v146, s64, -v53                            // 000000026B44: D1CB0092 84D48192
	v_fma_f32 v147, v147, s64, -v53                            // 000000026B4C: D1CB0093 84D48193
	v_fma_f32 v148, v148, s64, -v53                            // 000000026B54: D1CB0094 84D48194
	v_fma_f32 v149, v149, s64, -v53                            // 000000026B5C: D1CB0095 84D48195
	v_fma_f32 v150, v150, s64, -v53                            // 000000026B64: D1CB0096 84D48196
	v_fma_f32 v151, v151, s64, -v53                            // 000000026B6C: D1CB0097 84D48197
	v_fma_f32 v152, v152, s64, -v53                            // 000000026B74: D1CB0098 84D48198
	v_fma_f32 v153, v153, s64, -v53                            // 000000026B7C: D1CB0099 84D48199
	v_fma_f32 v154, v154, s64, -v53                            // 000000026B84: D1CB009A 84D4819A
	v_fma_f32 v155, v155, s64, -v53                            // 000000026B8C: D1CB009B 84D4819B
	v_fma_f32 v156, v156, s64, -v53                            // 000000026B94: D1CB009C 84D4819C
	v_fma_f32 v157, v157, s64, -v53                            // 000000026B9C: D1CB009D 84D4819D
	v_fma_f32 v158, v158, s64, -v53                            // 000000026BA4: D1CB009E 84D4819E
	v_fma_f32 v159, v159, s64, -v53                            // 000000026BAC: D1CB009F 84D4819F
	v_exp_f32_e32 v144, v144                                   // 000000026BB4: 7F204190
	v_exp_f32_e32 v145, v145                                   // 000000026BB8: 7F224191
	v_exp_f32_e32 v146, v146                                   // 000000026BBC: 7F244192
	v_exp_f32_e32 v147, v147                                   // 000000026BC0: 7F264193
	v_exp_f32_e32 v148, v148                                   // 000000026BC4: 7F284194
	v_exp_f32_e32 v149, v149                                   // 000000026BC8: 7F2A4195
	v_exp_f32_e32 v150, v150                                   // 000000026BCC: 7F2C4196
	v_exp_f32_e32 v151, v151                                   // 000000026BD0: 7F2E4197
	v_exp_f32_e32 v152, v152                                   // 000000026BD4: 7F304198
	v_exp_f32_e32 v153, v153                                   // 000000026BD8: 7F324199
	v_exp_f32_e32 v154, v154                                   // 000000026BDC: 7F34419A
	v_exp_f32_e32 v155, v155                                   // 000000026BE0: 7F36419B
	v_exp_f32_e32 v156, v156                                   // 000000026BE4: 7F38419C
	v_exp_f32_e32 v157, v157                                   // 000000026BE8: 7F3A419D
	v_exp_f32_e32 v158, v158                                   // 000000026BEC: 7F3C419E
	v_exp_f32_e32 v159, v159                                   // 000000026BF0: 7F3E419F
	v_mul_f32_dpp v240, v252, v144 quad_perm:[0,0,0,0] row_mask:0xf bank_mask:0xf// 000000026BF4: 0BE120FA FF0000FC
	v_mul_f32_dpp v241, v252, v145 quad_perm:[1,1,1,1] row_mask:0xf bank_mask:0xf// 000000026BFC: 0BE322FA FF0055FC
	v_mul_f32_dpp v242, v252, v146 quad_perm:[2,2,2,2] row_mask:0xf bank_mask:0xf// 000000026C04: 0BE524FA FF00AAFC
	v_mul_f32_dpp v243, v252, v147 quad_perm:[3,3,3,3] row_mask:0xf bank_mask:0xf// 000000026C0C: 0BE726FA FF00FFFC
	v_mul_f32_dpp v244, v253, v148 quad_perm:[0,0,0,0] row_mask:0xf bank_mask:0xf// 000000026C14: 0BE928FA FF0000FD
	v_mul_f32_dpp v245, v253, v149 quad_perm:[1,1,1,1] row_mask:0xf bank_mask:0xf// 000000026C1C: 0BEB2AFA FF0055FD
	v_mul_f32_dpp v246, v253, v150 quad_perm:[2,2,2,2] row_mask:0xf bank_mask:0xf// 000000026C24: 0BED2CFA FF00AAFD
	v_mul_f32_dpp v247, v253, v151 quad_perm:[3,3,3,3] row_mask:0xf bank_mask:0xf// 000000026C2C: 0BEF2EFA FF00FFFD
	v_mul_f32_dpp v248, v254, v152 quad_perm:[0,0,0,0] row_mask:0xf bank_mask:0xf// 000000026C34: 0BF130FA FF0000FE
	v_mul_f32_dpp v249, v254, v153 quad_perm:[1,1,1,1] row_mask:0xf bank_mask:0xf// 000000026C3C: 0BF332FA FF0055FE
	v_mul_f32_dpp v250, v254, v154 quad_perm:[2,2,2,2] row_mask:0xf bank_mask:0xf// 000000026C44: 0BF534FA FF00AAFE
	v_mul_f32_dpp v251, v254, v155 quad_perm:[3,3,3,3] row_mask:0xf bank_mask:0xf// 000000026C4C: 0BF736FA FF00FFFE
	v_mul_f32_dpp v252, v255, v156 quad_perm:[0,0,0,0] row_mask:0xf bank_mask:0xf// 000000026C54: 0BF938FA FF0000FF
	v_mul_f32_dpp v253, v255, v157 quad_perm:[1,1,1,1] row_mask:0xf bank_mask:0xf// 000000026C5C: 0BFB3AFA FF0055FF
	v_mul_f32_dpp v254, v255, v158 quad_perm:[2,2,2,2] row_mask:0xf bank_mask:0xf// 000000026C64: 0BFD3CFA FF00AAFF
	v_mul_f32_dpp v255, v255, v159 quad_perm:[3,3,3,3] row_mask:0xf bank_mask:0xf// 000000026C6C: 0BFF3EFA FF00FFFF
	v_mov_b32_e32 v48, 0x358637bd                              // 000000026C74: 7E6002FF 358637BD
	v_max3_f32 v48, |v240|, |v241|, v48                        // 000000026C7C: D1D30330 04C3E3F0
	v_max3_f32 v48, |v242|, |v243|, v48                        // 000000026C84: D1D30330 04C3E7F2
	v_max3_f32 v48, |v244|, |v245|, v48                        // 000000026C8C: D1D30330 04C3EBF4
	v_max3_f32 v48, |v246|, |v247|, v48                        // 000000026C94: D1D30330 04C3EFF6
	v_max3_f32 v48, |v248|, |v249|, v48                        // 000000026C9C: D1D30330 04C3F3F8
	v_max3_f32 v48, |v250|, |v251|, v48                        // 000000026CA4: D1D30330 04C3F7FA
	v_max3_f32 v48, |v252|, |v253|, v48                        // 000000026CAC: D1D30330 04C3FBFC
	v_max3_f32 v48, |v254|, |v255|, v48                        // 000000026CB4: D1D30330 04C3FFFE
	ds_write_b32 v8, v48 offset:20992                          // 000000026CBC: D81A5200 00003008
	v_sub_f32_e32 v51, v13, v15                                // 000000026CC4: 04661F0D
	v_cndmask_b32_e64 v51, v51, 0, s[40:41]                    // 000000026CC8: D1000033 00A10133
	v_mov_b32_e32 v13, v15                                     // 000000026CD0: 7E1A030F
	v_mul_f32_e32 v51, s64, v51                                // 000000026CD4: 0A666640
	v_exp_f32_e32 v51, v51                                     // 000000026CD8: 7E664133
	s_waitcnt lgkmcnt(0)                                       // 000000026CDC: BF8CC07F
	s_barrier                                                  // 000000026CE0: BF8A0000
	ds_read_b32 v64, v7 offset:20992                           // 000000026CE4: D86C5200 40000007
	ds_read_b32 v65, v7 offset:21056                           // 000000026CEC: D86C5240 41000007
	ds_read_b32 v66, v7 offset:21120                           // 000000026CF4: D86C5280 42000007
	ds_read_b32 v67, v7 offset:21184                           // 000000026CFC: D86C52C0 43000007
	ds_read_b32 v68, v7 offset:21248                           // 000000026D04: D86C5300 44000007
	ds_read_b32 v69, v7 offset:21312                           // 000000026D0C: D86C5340 45000007
	ds_read_b32 v70, v7 offset:21376                           // 000000026D14: D86C5380 46000007
	ds_read_b32 v71, v7 offset:21440                           // 000000026D1C: D86C53C0 47000007
	ds_read_b32 v72, v7 offset:21504                           // 000000026D24: D86C5400 48000007
	ds_read_b32 v73, v7 offset:21568                           // 000000026D2C: D86C5440 49000007
	ds_read_b32 v74, v7 offset:21632                           // 000000026D34: D86C5480 4A000007
	ds_read_b32 v75, v7 offset:21696                           // 000000026D3C: D86C54C0 4B000007
	ds_read_b32 v76, v7 offset:21760                           // 000000026D44: D86C5500 4C000007
	ds_read_b32 v77, v7 offset:21824                           // 000000026D4C: D86C5540 4D000007
	ds_read_b32 v78, v7 offset:21888                           // 000000026D54: D86C5580 4E000007
	ds_read_b32 v79, v7 offset:21952                           // 000000026D5C: D86C55C0 4F000007
	v_mul_f32_e32 v40, v51, v40                                // 000000026D64: 0A505133
	v_mov_b32_e32 v15, v144                                    // 000000026D68: 7E1E0390
	v_add_f32_e32 v15, v145, v15                               // 000000026D6C: 021E1F91
	v_add_f32_e32 v15, v146, v15                               // 000000026D70: 021E1F92
	v_add_f32_e32 v15, v147, v15                               // 000000026D74: 021E1F93
	v_add_f32_e32 v15, v148, v15                               // 000000026D78: 021E1F94
	v_add_f32_e32 v15, v149, v15                               // 000000026D7C: 021E1F95
	v_add_f32_e32 v15, v150, v15                               // 000000026D80: 021E1F96
	v_add_f32_e32 v15, v151, v15                               // 000000026D84: 021E1F97
	v_add_f32_e32 v15, v152, v15                               // 000000026D88: 021E1F98
	v_add_f32_e32 v15, v153, v15                               // 000000026D8C: 021E1F99
	v_add_f32_e32 v15, v154, v15                               // 000000026D90: 021E1F9A
	v_add_f32_e32 v15, v155, v15                               // 000000026D94: 021E1F9B
	v_add_f32_e32 v15, v156, v15                               // 000000026D98: 021E1F9C
	v_add_f32_e32 v15, v157, v15                               // 000000026D9C: 021E1F9D
	v_add_f32_e32 v15, v158, v15                               // 000000026DA0: 021E1F9E
	v_add_f32_e32 v15, v159, v15                               // 000000026DA4: 021E1F9F
	v_add_f32_e32 v40, v15, v40                                // 000000026DA8: 0250510F
	s_waitcnt lgkmcnt(0)                                       // 000000026DAC: BF8CC07F
	v_max3_f32 v48, |v64|, |v65|, v48                          // 000000026DB0: D1D30330 04C28340
	v_max3_f32 v48, |v66|, |v67|, v48                          // 000000026DB8: D1D30330 04C28742
	v_max3_f32 v48, |v68|, |v69|, v48                          // 000000026DC0: D1D30330 04C28B44
	v_max3_f32 v48, |v70|, |v71|, v48                          // 000000026DC8: D1D30330 04C28F46
	v_max3_f32 v48, |v72|, |v73|, v48                          // 000000026DD0: D1D30330 04C29348
	v_max3_f32 v48, |v74|, |v75|, v48                          // 000000026DD8: D1D30330 04C2974A
	v_max3_f32 v48, |v76|, |v77|, v48                          // 000000026DE0: D1D30330 04C29B4C
	v_max3_f32 v48, |v78|, |v79|, v48                          // 000000026DE8: D1D30330 04C29F4E
	s_nop 2                                                    // 000000026DF0: BF800002
	v_rcp_f32_e32 v48, v48                                     // 000000026DF4: 7E604530
	s_nop 1                                                    // 000000026DF8: BF800001
	v_mul_f32_e32 v48, 0x42fe0000, v48                         // 000000026DFC: 0A6060FF 42FE0000
	v_mul_f32_e32 v144, v48, v240                              // 000000026E04: 0B21E130
	v_mul_f32_e32 v145, v48, v241                              // 000000026E08: 0B23E330
	v_mul_f32_e32 v146, v48, v242                              // 000000026E0C: 0B25E530
	v_mul_f32_e32 v147, v48, v243                              // 000000026E10: 0B27E730
	v_mul_f32_e32 v148, v48, v244                              // 000000026E14: 0B29E930
	v_mul_f32_e32 v149, v48, v245                              // 000000026E18: 0B2BEB30
	v_mul_f32_e32 v150, v48, v246                              // 000000026E1C: 0B2DED30
	v_mul_f32_e32 v151, v48, v247                              // 000000026E20: 0B2FEF30
	v_mul_f32_e32 v152, v48, v248                              // 000000026E24: 0B31F130
	v_mul_f32_e32 v153, v48, v249                              // 000000026E28: 0B33F330
	v_mul_f32_e32 v154, v48, v250                              // 000000026E2C: 0B35F530
	v_mul_f32_e32 v155, v48, v251                              // 000000026E30: 0B37F730
	v_mul_f32_e32 v156, v48, v252                              // 000000026E34: 0B39F930
	v_mul_f32_e32 v157, v48, v253                              // 000000026E38: 0B3BFB30
	v_mul_f32_e32 v158, v48, v254                              // 000000026E3C: 0B3DFD30
	v_mul_f32_e32 v159, v48, v255                              // 000000026E40: 0B3FFF30
	v_cvt_i32_f32_e32 v144, v144                               // 000000026E44: 7F201190
	v_cvt_i32_f32_e32 v145, v145                               // 000000026E48: 7F221191
	v_cvt_i32_f32_e32 v146, v146                               // 000000026E4C: 7F241192
	v_cvt_i32_f32_e32 v147, v147                               // 000000026E50: 7F261193
	v_cvt_i32_f32_e32 v148, v148                               // 000000026E54: 7F281194
	v_cvt_i32_f32_e32 v149, v149                               // 000000026E58: 7F2A1195
	v_cvt_i32_f32_e32 v150, v150                               // 000000026E5C: 7F2C1196
	v_cvt_i32_f32_e32 v151, v151                               // 000000026E60: 7F2E1197
	v_cvt_i32_f32_e32 v152, v152                               // 000000026E64: 7F301198
	v_cvt_i32_f32_e32 v153, v153                               // 000000026E68: 7F321199
	v_cvt_i32_f32_e32 v154, v154                               // 000000026E6C: 7F34119A
	v_cvt_i32_f32_e32 v155, v155                               // 000000026E70: 7F36119B
	v_cvt_i32_f32_e32 v156, v156                               // 000000026E74: 7F38119C
	v_cvt_i32_f32_e32 v157, v157                               // 000000026E78: 7F3A119D
	v_cvt_i32_f32_e32 v158, v158                               // 000000026E7C: 7F3C119E
	v_cvt_i32_f32_e32 v159, v159                               // 000000026E80: 7F3E119F
	v_perm_b32 v144, v145, v144, s53                           // 000000026E84: D1ED0090 00D72191
	v_perm_b32 v144, v146, v144, s54                           // 000000026E8C: D1ED0090 00DB2192
	v_perm_b32 v144, v147, v144, s55                           // 000000026E94: D1ED0090 00DF2193
	v_perm_b32 v145, v149, v148, s53                           // 000000026E9C: D1ED0091 00D72995
	v_perm_b32 v145, v150, v145, s54                           // 000000026EA4: D1ED0091 00DB2396
	v_perm_b32 v145, v151, v145, s55                           // 000000026EAC: D1ED0091 00DF2397
	v_perm_b32 v146, v153, v152, s53                           // 000000026EB4: D1ED0092 00D73199
	v_perm_b32 v146, v154, v146, s54                           // 000000026EBC: D1ED0092 00DB259A
	v_perm_b32 v146, v155, v146, s55                           // 000000026EC4: D1ED0092 00DF259B
	v_perm_b32 v147, v157, v156, s53                           // 000000026ECC: D1ED0093 00D7399D
	v_perm_b32 v147, v158, v147, s54                           // 000000026ED4: D1ED0093 00DB279E
	v_perm_b32 v147, v159, v147, s55                           // 000000026EDC: D1ED0093 00DF279F
	ds_write_b32 v10, v144 offset:33280                        // 000000026EE4: D81A8200 0000900A
	ds_write_b32 v10, v145 offset:34304                        // 000000026EEC: D81A8600 0000910A
	ds_write_b32 v10, v146 offset:35328                        // 000000026EF4: D81A8A00 0000920A
	ds_write_b32 v10, v147 offset:36352                        // 000000026EFC: D81A8E00 0000930A
	v_add_f32_e32 v224, v224, v192                             // 000000026F04: 03C181E0
	v_add_f32_e32 v225, v225, v193                             // 000000026F08: 03C383E1
	v_add_f32_e32 v226, v226, v194                             // 000000026F0C: 03C585E2
	v_add_f32_e32 v227, v227, v195                             // 000000026F10: 03C787E3
	v_add_f32_e32 v228, v228, v196                             // 000000026F14: 03C989E4
	v_add_f32_e32 v229, v229, v197                             // 000000026F18: 03CB8BE5
	v_add_f32_e32 v230, v230, v198                             // 000000026F1C: 03CD8DE6
	v_add_f32_e32 v231, v231, v199                             // 000000026F20: 03CF8FE7
	v_rcp_f32_e32 v46, v48                                     // 000000026F24: 7E5C4530
	s_waitcnt lgkmcnt(0)                                       // 000000026F28: BF8CC07F
	s_barrier                                                  // 000000026F2C: BF8A0000
	ds_read_b64 v[144:145], v9 offset:33280                    // 000000026F30: D8EC8200 90000009
	ds_read_b64 v[146:147], v9 offset:33408                    // 000000026F38: D8EC8280 92000009
	ds_read_b64 v[148:149], v9 offset:34304                    // 000000026F40: D8EC8600 94000009
	ds_read_b64 v[150:151], v9 offset:34432                    // 000000026F48: D8EC8680 96000009
	ds_read_b64 v[152:153], v9 offset:35328                    // 000000026F50: D8EC8A00 98000009
	ds_read_b64 v[154:155], v9 offset:35456                    // 000000026F58: D8EC8A80 9A000009
	ds_read_b64 v[156:157], v9 offset:36352                    // 000000026F60: D8EC8E00 9C000009
	ds_read_b64 v[158:159], v9 offset:36480                    // 000000026F68: D8EC8E80 9E000009
	v_mov_b32_dpp v64, v42 row_shr:4 row_mask:0xf bank_mask:0xf// 000000026F70: 7E8002FA FF01142A
	v_mov_b32_dpp v65, v42 row_shl:4 row_mask:0xf bank_mask:0xf// 000000026F78: 7E8202FA FF01042A
	v_cndmask_b32_e64 v248, v42, v64, s[44:45]                 // 000000026F80: D10000F8 00B2812A
	v_cndmask_b32_e64 v249, v65, v42, s[44:45]                 // 000000026F88: D10000F9 00B25541
	v_mov_b32_dpp v64, v248 row_shr:8 row_mask:0xf bank_mask:0xf// 000000026F90: 7E8002FA FF0118F8
	v_mov_b32_dpp v65, v248 row_shl:8 row_mask:0xf bank_mask:0xf// 000000026F98: 7E8202FA FF0108F8
	v_mov_b32_dpp v66, v249 row_shr:8 row_mask:0xf bank_mask:0xf// 000000026FA0: 7E8402FA FF0118F9
	v_mov_b32_dpp v67, v249 row_shl:8 row_mask:0xf bank_mask:0xf// 000000026FA8: 7E8602FA FF0108F9
	v_mov_b32_e32 v68, v248                                    // 000000026FB0: 7E8803F8
	v_mov_b32_e32 v69, v249                                    // 000000026FB4: 7E8A03F9
	v_cndmask_b32_e64 v248, v68, v64, s[42:43]                 // 000000026FB8: D10000F8 00AA8144
	v_cndmask_b32_e64 v250, v68, v65, s[78:79]                 // 000000026FC0: D10000FA 013A8344
	v_cndmask_b32_e64 v249, v69, v66, s[42:43]                 // 000000026FC8: D10000F9 00AA8545
	v_cndmask_b32_e64 v251, v69, v67, s[78:79]                 // 000000026FD0: D10000FB 013A8745
	v_mov_b32_dpp v64, v57 row_shr:4 row_mask:0xf bank_mask:0xf// 000000026FD8: 7E8002FA FF011439
	v_mov_b32_dpp v65, v57 row_shl:4 row_mask:0xf bank_mask:0xf// 000000026FE0: 7E8202FA FF010439
	v_cndmask_b32_e64 v252, v57, v64, s[44:45]                 // 000000026FE8: D10000FC 00B28139
	v_cndmask_b32_e64 v253, v65, v57, s[44:45]                 // 000000026FF0: D10000FD 00B27341
	v_mov_b32_dpp v64, v252 row_shr:8 row_mask:0xf bank_mask:0xf// 000000026FF8: 7E8002FA FF0118FC
	v_mov_b32_dpp v65, v252 row_shl:8 row_mask:0xf bank_mask:0xf// 000000027000: 7E8202FA FF0108FC
	v_mov_b32_dpp v66, v253 row_shr:8 row_mask:0xf bank_mask:0xf// 000000027008: 7E8402FA FF0118FD
	v_mov_b32_dpp v67, v253 row_shl:8 row_mask:0xf bank_mask:0xf// 000000027010: 7E8602FA FF0108FD
	v_mov_b32_e32 v68, v252                                    // 000000027018: 7E8803FC
	v_mov_b32_e32 v69, v253                                    // 00000002701C: 7E8A03FD
	v_cndmask_b32_e64 v252, v68, v64, s[42:43]                 // 000000027020: D10000FC 00AA8144
	v_cndmask_b32_e64 v254, v68, v65, s[78:79]                 // 000000027028: D10000FE 013A8344
	v_cndmask_b32_e64 v253, v69, v66, s[42:43]                 // 000000027030: D10000FD 00AA8545
	v_cndmask_b32_e64 v255, v69, v67, s[78:79]                 // 000000027038: D10000FF 013A8745
	v_cvt_f32_i32_e32 v160, v160                               // 000000027040: 7F400BA0
	v_cvt_f32_i32_e32 v161, v161                               // 000000027044: 7F420BA1
	v_cvt_f32_i32_e32 v162, v162                               // 000000027048: 7F440BA2
	v_cvt_f32_i32_e32 v163, v163                               // 00000002704C: 7F460BA3
	v_cvt_f32_i32_e32 v164, v164                               // 000000027050: 7F480BA4
	v_cvt_f32_i32_e32 v165, v165                               // 000000027054: 7F4A0BA5
	v_cvt_f32_i32_e32 v166, v166                               // 000000027058: 7F4C0BA6
	v_cvt_f32_i32_e32 v167, v167                               // 00000002705C: 7F4E0BA7
	v_cvt_f32_i32_e32 v168, v168                               // 000000027060: 7F500BA8
	v_cvt_f32_i32_e32 v169, v169                               // 000000027064: 7F520BA9
	v_cvt_f32_i32_e32 v170, v170                               // 000000027068: 7F540BAA
	v_cvt_f32_i32_e32 v171, v171                               // 00000002706C: 7F560BAB
	v_cvt_f32_i32_e32 v172, v172                               // 000000027070: 7F580BAC
	v_cvt_f32_i32_e32 v173, v173                               // 000000027074: 7F5A0BAD
	v_cvt_f32_i32_e32 v174, v174                               // 000000027078: 7F5C0BAE
	v_cvt_f32_i32_e32 v175, v175                               // 00000002707C: 7F5E0BAF
	v_mul_f32_e32 v160, v21, v160                              // 000000027080: 0B414115
	v_mul_f32_e32 v161, v21, v161                              // 000000027084: 0B434315
	v_mul_f32_e32 v162, v21, v162                              // 000000027088: 0B454515
	v_mul_f32_e32 v163, v21, v163                              // 00000002708C: 0B474715
	v_mul_f32_e32 v164, v21, v164                              // 000000027090: 0B494915
	v_mul_f32_e32 v165, v21, v165                              // 000000027094: 0B4B4B15
	v_mul_f32_e32 v166, v21, v166                              // 000000027098: 0B4D4D15
	v_mul_f32_e32 v167, v21, v167                              // 00000002709C: 0B4F4F15
	v_mul_f32_e32 v168, v21, v168                              // 0000000270A0: 0B515115
	v_mul_f32_e32 v169, v21, v169                              // 0000000270A4: 0B535315
	v_mul_f32_e32 v170, v21, v170                              // 0000000270A8: 0B555515
	v_mul_f32_e32 v171, v21, v171                              // 0000000270AC: 0B575715
	v_mul_f32_e32 v172, v21, v172                              // 0000000270B0: 0B595915
	v_mul_f32_e32 v173, v21, v173                              // 0000000270B4: 0B5B5B15
	v_mul_f32_e32 v174, v21, v174                              // 0000000270B8: 0B5D5D15
	v_mul_f32_e32 v175, v21, v175                              // 0000000270BC: 0B5F5F15
	v_mul_f32_dpp v160, v248, v160 quad_perm:[0,0,0,0] row_mask:0xf bank_mask:0xf// 0000000270C0: 0B4140FA FF0000F8
	v_mul_f32_dpp v161, v248, v161 quad_perm:[1,1,1,1] row_mask:0xf bank_mask:0xf// 0000000270C8: 0B4342FA FF0055F8
	v_mul_f32_dpp v162, v248, v162 quad_perm:[2,2,2,2] row_mask:0xf bank_mask:0xf// 0000000270D0: 0B4544FA FF00AAF8
	v_mul_f32_dpp v163, v248, v163 quad_perm:[3,3,3,3] row_mask:0xf bank_mask:0xf// 0000000270D8: 0B4746FA FF00FFF8
	v_mul_f32_dpp v164, v249, v164 quad_perm:[0,0,0,0] row_mask:0xf bank_mask:0xf// 0000000270E0: 0B4948FA FF0000F9
	v_mul_f32_dpp v165, v249, v165 quad_perm:[1,1,1,1] row_mask:0xf bank_mask:0xf// 0000000270E8: 0B4B4AFA FF0055F9
	v_mul_f32_dpp v166, v249, v166 quad_perm:[2,2,2,2] row_mask:0xf bank_mask:0xf// 0000000270F0: 0B4D4CFA FF00AAF9
	v_mul_f32_dpp v167, v249, v167 quad_perm:[3,3,3,3] row_mask:0xf bank_mask:0xf// 0000000270F8: 0B4F4EFA FF00FFF9
	v_mul_f32_dpp v168, v250, v168 quad_perm:[0,0,0,0] row_mask:0xf bank_mask:0xf// 000000027100: 0B5150FA FF0000FA
	v_mul_f32_dpp v169, v250, v169 quad_perm:[1,1,1,1] row_mask:0xf bank_mask:0xf// 000000027108: 0B5352FA FF0055FA
	v_mul_f32_dpp v170, v250, v170 quad_perm:[2,2,2,2] row_mask:0xf bank_mask:0xf// 000000027110: 0B5554FA FF00AAFA
	v_mul_f32_dpp v171, v250, v171 quad_perm:[3,3,3,3] row_mask:0xf bank_mask:0xf// 000000027118: 0B5756FA FF00FFFA
	v_mul_f32_dpp v172, v251, v172 quad_perm:[0,0,0,0] row_mask:0xf bank_mask:0xf// 000000027120: 0B5958FA FF0000FB
	v_mul_f32_dpp v173, v251, v173 quad_perm:[1,1,1,1] row_mask:0xf bank_mask:0xf// 000000027128: 0B5B5AFA FF0055FB
	v_mul_f32_dpp v174, v251, v174 quad_perm:[2,2,2,2] row_mask:0xf bank_mask:0xf// 000000027130: 0B5D5CFA FF00AAFB
	v_mul_f32_dpp v175, v251, v175 quad_perm:[3,3,3,3] row_mask:0xf bank_mask:0xf// 000000027138: 0B5F5EFA FF00FFFB
	s_cmp_le_i32 s90, s89                                      // 000000027140: BF05595A
	s_cbranch_scc1 label_9443                                  // 000000027144: BF850071
	v_mov_b32_e32 v66, 0xff800000                              // 000000027148: 7E8402FF FF800000
	s_mov_b32 s60, s90                                         // 000000027150: BEBC005A
	s_add_u32 s61, s89, 0xff                                   // 000000027154: 803DFF59 000000FF
	v_mov_b32_e32 v64, s61                                     // 00000002715C: 7E80023D
	v_lshrrev_b32_e32 v240, 4, v0                              // 000000027160: 21E00084
	v_mul_i32_i24_e32 v240, 4, v240                            // 000000027164: 0DE1E084
	v_add_u32_e32 v240, s60, v240                              // 000000027168: 69E1E03C
	s_mov_b32 s61, 3                                           // 00000002716C: BEBD0083
	s_mul_i32 s60, 16, s7                                      // 000000027170: 923C0790
	v_sub_u32_e64 v240, v240, s61                              // 000000027174: D13500F0 00007BF0
	v_add_u32_e32 v240, s60, v240                              // 00000002717C: 69E1E03C
	v_add_u32_e32 v241, 1, v240                                // 000000027180: 69E3E081
	v_add_u32_e32 v242, 2, v240                                // 000000027184: 69E5E082
	v_add_u32_e32 v243, 3, v240                                // 000000027188: 69E7E083
	v_cmp_le_u32_e64 s[40:41], v240, v64                       // 00000002718C: D0CB0028 000281F0
	v_add_u32_e32 v240, 64, v240                               // 000000027194: 69E1E0C0
	s_nop 0                                                    // 000000027198: BF800000
	v_cndmask_b32_e64 v160, v66, v160, s[40:41]                // 00000002719C: D10000A0 00A34142
	v_cmp_le_u32_e64 s[40:41], v241, v64                       // 0000000271A4: D0CB0028 000281F1
	v_add_u32_e32 v241, 64, v241                               // 0000000271AC: 69E3E2C0
	s_nop 0                                                    // 0000000271B0: BF800000
	v_cndmask_b32_e64 v161, v66, v161, s[40:41]                // 0000000271B4: D10000A1 00A34342
	v_cmp_le_u32_e64 s[40:41], v242, v64                       // 0000000271BC: D0CB0028 000281F2
	v_add_u32_e32 v242, 64, v242                               // 0000000271C4: 69E5E4C0
	s_nop 0                                                    // 0000000271C8: BF800000
	v_cndmask_b32_e64 v162, v66, v162, s[40:41]                // 0000000271CC: D10000A2 00A34542
	v_cmp_le_u32_e64 s[40:41], v243, v64                       // 0000000271D4: D0CB0028 000281F3
	v_add_u32_e32 v243, 64, v243                               // 0000000271DC: 69E7E6C0
	s_nop 0                                                    // 0000000271E0: BF800000
	v_cndmask_b32_e64 v163, v66, v163, s[40:41]                // 0000000271E4: D10000A3 00A34742
	v_cmp_le_u32_e64 s[40:41], v240, v64                       // 0000000271EC: D0CB0028 000281F0
	v_add_u32_e32 v240, 64, v240                               // 0000000271F4: 69E1E0C0
	s_nop 0                                                    // 0000000271F8: BF800000
	v_cndmask_b32_e64 v164, v66, v164, s[40:41]                // 0000000271FC: D10000A4 00A34942
	v_cmp_le_u32_e64 s[40:41], v241, v64                       // 000000027204: D0CB0028 000281F1
	v_add_u32_e32 v241, 64, v241                               // 00000002720C: 69E3E2C0
	s_nop 0                                                    // 000000027210: BF800000
	v_cndmask_b32_e64 v165, v66, v165, s[40:41]                // 000000027214: D10000A5 00A34B42
	v_cmp_le_u32_e64 s[40:41], v242, v64                       // 00000002721C: D0CB0028 000281F2
	v_add_u32_e32 v242, 64, v242                               // 000000027224: 69E5E4C0
	s_nop 0                                                    // 000000027228: BF800000
	v_cndmask_b32_e64 v166, v66, v166, s[40:41]                // 00000002722C: D10000A6 00A34D42
	v_cmp_le_u32_e64 s[40:41], v243, v64                       // 000000027234: D0CB0028 000281F3
	v_add_u32_e32 v243, 64, v243                               // 00000002723C: 69E7E6C0
	s_nop 0                                                    // 000000027240: BF800000
	v_cndmask_b32_e64 v167, v66, v167, s[40:41]                // 000000027244: D10000A7 00A34F42
	v_cmp_le_u32_e64 s[40:41], v240, v64                       // 00000002724C: D0CB0028 000281F0
	v_add_u32_e32 v240, 64, v240                               // 000000027254: 69E1E0C0
	s_nop 0                                                    // 000000027258: BF800000
	v_cndmask_b32_e64 v168, v66, v168, s[40:41]                // 00000002725C: D10000A8 00A35142
	v_cmp_le_u32_e64 s[40:41], v241, v64                       // 000000027264: D0CB0028 000281F1
	v_add_u32_e32 v241, 64, v241                               // 00000002726C: 69E3E2C0
	s_nop 0                                                    // 000000027270: BF800000
	v_cndmask_b32_e64 v169, v66, v169, s[40:41]                // 000000027274: D10000A9 00A35342
	v_cmp_le_u32_e64 s[40:41], v242, v64                       // 00000002727C: D0CB0028 000281F2
	v_add_u32_e32 v242, 64, v242                               // 000000027284: 69E5E4C0
	s_nop 0                                                    // 000000027288: BF800000
	v_cndmask_b32_e64 v170, v66, v170, s[40:41]                // 00000002728C: D10000AA 00A35542
	v_cmp_le_u32_e64 s[40:41], v243, v64                       // 000000027294: D0CB0028 000281F3
	v_add_u32_e32 v243, 64, v243                               // 00000002729C: 69E7E6C0
	s_nop 0                                                    // 0000000272A0: BF800000
	v_cndmask_b32_e64 v171, v66, v171, s[40:41]                // 0000000272A4: D10000AB 00A35742
	v_cmp_le_u32_e64 s[40:41], v240, v64                       // 0000000272AC: D0CB0028 000281F0
	v_add_u32_e32 v240, 64, v240                               // 0000000272B4: 69E1E0C0
	s_nop 0                                                    // 0000000272B8: BF800000
	v_cndmask_b32_e64 v172, v66, v172, s[40:41]                // 0000000272BC: D10000AC 00A35942
	v_cmp_le_u32_e64 s[40:41], v241, v64                       // 0000000272C4: D0CB0028 000281F1
	v_add_u32_e32 v241, 64, v241                               // 0000000272CC: 69E3E2C0
	s_nop 0                                                    // 0000000272D0: BF800000
	v_cndmask_b32_e64 v173, v66, v173, s[40:41]                // 0000000272D4: D10000AD 00A35B42
	v_cmp_le_u32_e64 s[40:41], v242, v64                       // 0000000272DC: D0CB0028 000281F2
	v_add_u32_e32 v242, 64, v242                               // 0000000272E4: 69E5E4C0
	s_nop 0                                                    // 0000000272E8: BF800000
	v_cndmask_b32_e64 v174, v66, v174, s[40:41]                // 0000000272EC: D10000AE 00A35D42
	v_cmp_le_u32_e64 s[40:41], v243, v64                       // 0000000272F4: D0CB0028 000281F3
	v_add_u32_e32 v243, 64, v243                               // 0000000272FC: 69E7E6C0
	s_nop 0                                                    // 000000027300: BF800000
	v_cndmask_b32_e64 v175, v66, v175, s[40:41]                // 000000027304: D10000AF 00A35F42

000000000002730c <label_9443>:
	s_add_u32 s90, s91, s90                                    // 00000002730C: 805A5A5B
	v_mov_b32_e32 v48, v160                                    // 000000027310: 7E6003A0
	v_max3_f32 v48, v160, v161, v48                            // 000000027314: D1D30030 04C343A0
	v_max3_f32 v48, v162, v163, v48                            // 00000002731C: D1D30030 04C347A2
	v_max3_f32 v48, v164, v165, v48                            // 000000027324: D1D30030 04C34BA4
	v_max3_f32 v48, v166, v167, v48                            // 00000002732C: D1D30030 04C34FA6
	v_max3_f32 v48, v168, v169, v48                            // 000000027334: D1D30030 04C353A8
	v_max3_f32 v48, v170, v171, v48                            // 00000002733C: D1D30030 04C357AA
	v_max3_f32 v48, v172, v173, v48                            // 000000027344: D1D30030 04C35BAC
	v_max3_f32 v48, v174, v175, v48                            // 00000002734C: D1D30030 04C35FAE
	ds_write_b32 v8, v48 offset:16896                          // 000000027354: D81A4200 00003008
	v_mul_f32_e32 v232, v52, v232                              // 00000002735C: 0BD1D134
	v_mul_f32_e32 v233, v52, v233                              // 000000027360: 0BD3D334
	v_mul_f32_e32 v234, v52, v234                              // 000000027364: 0BD5D534
	v_mul_f32_e32 v235, v52, v235                              // 000000027368: 0BD7D734
	v_mul_f32_e32 v236, v52, v236                              // 00000002736C: 0BD9D934
	v_mul_f32_e32 v237, v52, v237                              // 000000027370: 0BDBDB34
	v_mul_f32_e32 v238, v52, v238                              // 000000027374: 0BDDDD34
	v_mul_f32_e32 v239, v52, v239                              // 000000027378: 0BDFDF34
	s_waitcnt lgkmcnt(0)                                       // 00000002737C: BF8CC07F
	s_barrier                                                  // 000000027380: BF8A0000
	ds_read_b32 v64, v7 offset:16896                           // 000000027384: D86C4200 40000007
	ds_read_b32 v65, v7 offset:16960                           // 00000002738C: D86C4240 41000007
	ds_read_b32 v66, v7 offset:17024                           // 000000027394: D86C4280 42000007
	ds_read_b32 v67, v7 offset:17088                           // 00000002739C: D86C42C0 43000007
	ds_read_b32 v68, v7 offset:17152                           // 0000000273A4: D86C4300 44000007
	ds_read_b32 v69, v7 offset:17216                           // 0000000273AC: D86C4340 45000007
	ds_read_b32 v70, v7 offset:17280                           // 0000000273B4: D86C4380 46000007
	ds_read_b32 v71, v7 offset:17344                           // 0000000273BC: D86C43C0 47000007
	ds_read_b32 v72, v7 offset:17408                           // 0000000273C4: D86C4400 48000007
	ds_read_b32 v73, v7 offset:17472                           // 0000000273CC: D86C4440 49000007
	ds_read_b32 v74, v7 offset:17536                           // 0000000273D4: D86C4480 4A000007
	ds_read_b32 v75, v7 offset:17600                           // 0000000273DC: D86C44C0 4B000007
	ds_read_b32 v76, v7 offset:17664                           // 0000000273E4: D86C4500 4C000007
	ds_read_b32 v77, v7 offset:17728                           // 0000000273EC: D86C4540 4D000007
	ds_read_b32 v78, v7 offset:17792                           // 0000000273F4: D86C4580 4E000007
	ds_read_b32 v79, v7 offset:17856                           // 0000000273FC: D86C45C0 4F000007
	v_cvt_f32_i32_e32 v200, v200                               // 000000027404: 7F900BC8
	v_cvt_f32_i32_e32 v201, v201                               // 000000027408: 7F920BC9
	v_cvt_f32_i32_e32 v202, v202                               // 00000002740C: 7F940BCA
	v_cvt_f32_i32_e32 v203, v203                               // 000000027410: 7F960BCB
	v_cvt_f32_i32_e32 v204, v204                               // 000000027414: 7F980BCC
	v_cvt_f32_i32_e32 v205, v205                               // 000000027418: 7F9A0BCD
	v_cvt_f32_i32_e32 v206, v206                               // 00000002741C: 7F9C0BCE
	v_cvt_f32_i32_e32 v207, v207                               // 000000027420: 7F9E0BCF
	v_mul_f32_e32 v200, v47, v200                              // 000000027424: 0B91912F
	v_mul_f32_e32 v201, v47, v201                              // 000000027428: 0B93932F
	v_mul_f32_e32 v202, v47, v202                              // 00000002742C: 0B95952F
	v_mul_f32_e32 v203, v47, v203                              // 000000027430: 0B97972F
	v_mul_f32_e32 v204, v47, v204                              // 000000027434: 0B99992F
	v_mul_f32_e32 v205, v47, v205                              // 000000027438: 0B9B9B2F
	v_mul_f32_e32 v206, v47, v206                              // 00000002743C: 0B9D9D2F
	v_mul_f32_e32 v207, v47, v207                              // 000000027440: 0B9F9F2F
	s_waitcnt lgkmcnt(0)                                       // 000000027444: BF8CC07F
	v_max3_f32 v48, v64, v65, v48                              // 000000027448: D1D30030 04C28340
	v_max3_f32 v48, v66, v67, v48                              // 000000027450: D1D30030 04C28742
	v_max3_f32 v48, v68, v69, v48                              // 000000027458: D1D30030 04C28B44
	v_max3_f32 v48, v70, v71, v48                              // 000000027460: D1D30030 04C28F46
	v_max3_f32 v48, v72, v73, v48                              // 000000027468: D1D30030 04C29348
	v_max3_f32 v48, v74, v75, v48                              // 000000027470: D1D30030 04C2974A
	v_max3_f32 v48, v76, v77, v48                              // 000000027478: D1D30030 04C29B4C
	v_max3_f32 v48, v78, v79, v48                              // 000000027480: D1D30030 04C29F4E
	v_mov_b32_e32 v64, 0xff800000                              // 000000027488: 7E8002FF FF800000
	v_cmp_eq_u32_e64 s[40:41], v64, v14                        // 000000027490: D0CA0028 00021D40
	s_nop 1                                                    // 000000027498: BF800001
	v_max_f32_e32 v15, v48, v14                                // 00000002749C: 161E1D30
	v_mul_f32_e32 v53, s64, v15                                // 0000000274A0: 0A6A1E40
	v_fma_f32 v160, v160, s64, -v53                            // 0000000274A4: D1CB00A0 84D481A0
	v_fma_f32 v161, v161, s64, -v53                            // 0000000274AC: D1CB00A1 84D481A1
	v_fma_f32 v162, v162, s64, -v53                            // 0000000274B4: D1CB00A2 84D481A2
	v_fma_f32 v163, v163, s64, -v53                            // 0000000274BC: D1CB00A3 84D481A3
	v_fma_f32 v164, v164, s64, -v53                            // 0000000274C4: D1CB00A4 84D481A4
	v_fma_f32 v165, v165, s64, -v53                            // 0000000274CC: D1CB00A5 84D481A5
	v_fma_f32 v166, v166, s64, -v53                            // 0000000274D4: D1CB00A6 84D481A6
	v_fma_f32 v167, v167, s64, -v53                            // 0000000274DC: D1CB00A7 84D481A7
	v_fma_f32 v168, v168, s64, -v53                            // 0000000274E4: D1CB00A8 84D481A8
	v_fma_f32 v169, v169, s64, -v53                            // 0000000274EC: D1CB00A9 84D481A9
	v_fma_f32 v170, v170, s64, -v53                            // 0000000274F4: D1CB00AA 84D481AA
	v_fma_f32 v171, v171, s64, -v53                            // 0000000274FC: D1CB00AB 84D481AB
	v_fma_f32 v172, v172, s64, -v53                            // 000000027504: D1CB00AC 84D481AC
	v_fma_f32 v173, v173, s64, -v53                            // 00000002750C: D1CB00AD 84D481AD
	v_fma_f32 v174, v174, s64, -v53                            // 000000027514: D1CB00AE 84D481AE
	v_fma_f32 v175, v175, s64, -v53                            // 00000002751C: D1CB00AF 84D481AF
	v_exp_f32_e32 v160, v160                                   // 000000027524: 7F4041A0
	v_exp_f32_e32 v161, v161                                   // 000000027528: 7F4241A1
	v_exp_f32_e32 v162, v162                                   // 00000002752C: 7F4441A2
	v_exp_f32_e32 v163, v163                                   // 000000027530: 7F4641A3
	v_exp_f32_e32 v164, v164                                   // 000000027534: 7F4841A4
	v_exp_f32_e32 v165, v165                                   // 000000027538: 7F4A41A5
	v_exp_f32_e32 v166, v166                                   // 00000002753C: 7F4C41A6
	v_exp_f32_e32 v167, v167                                   // 000000027540: 7F4E41A7
	v_exp_f32_e32 v168, v168                                   // 000000027544: 7F5041A8
	v_exp_f32_e32 v169, v169                                   // 000000027548: 7F5241A9
	v_exp_f32_e32 v170, v170                                   // 00000002754C: 7F5441AA
	v_exp_f32_e32 v171, v171                                   // 000000027550: 7F5641AB
	v_exp_f32_e32 v172, v172                                   // 000000027554: 7F5841AC
	v_exp_f32_e32 v173, v173                                   // 000000027558: 7F5A41AD
	v_exp_f32_e32 v174, v174                                   // 00000002755C: 7F5C41AE
	v_exp_f32_e32 v175, v175                                   // 000000027560: 7F5E41AF
	v_mul_f32_dpp v240, v252, v160 quad_perm:[0,0,0,0] row_mask:0xf bank_mask:0xf// 000000027564: 0BE140FA FF0000FC
	v_mul_f32_dpp v241, v252, v161 quad_perm:[1,1,1,1] row_mask:0xf bank_mask:0xf// 00000002756C: 0BE342FA FF0055FC
	v_mul_f32_dpp v242, v252, v162 quad_perm:[2,2,2,2] row_mask:0xf bank_mask:0xf// 000000027574: 0BE544FA FF00AAFC
	v_mul_f32_dpp v243, v252, v163 quad_perm:[3,3,3,3] row_mask:0xf bank_mask:0xf// 00000002757C: 0BE746FA FF00FFFC
	v_mul_f32_dpp v244, v253, v164 quad_perm:[0,0,0,0] row_mask:0xf bank_mask:0xf// 000000027584: 0BE948FA FF0000FD
	v_mul_f32_dpp v245, v253, v165 quad_perm:[1,1,1,1] row_mask:0xf bank_mask:0xf// 00000002758C: 0BEB4AFA FF0055FD
	v_mul_f32_dpp v246, v253, v166 quad_perm:[2,2,2,2] row_mask:0xf bank_mask:0xf// 000000027594: 0BED4CFA FF00AAFD
	v_mul_f32_dpp v247, v253, v167 quad_perm:[3,3,3,3] row_mask:0xf bank_mask:0xf// 00000002759C: 0BEF4EFA FF00FFFD
	v_mul_f32_dpp v248, v254, v168 quad_perm:[0,0,0,0] row_mask:0xf bank_mask:0xf// 0000000275A4: 0BF150FA FF0000FE
	v_mul_f32_dpp v249, v254, v169 quad_perm:[1,1,1,1] row_mask:0xf bank_mask:0xf// 0000000275AC: 0BF352FA FF0055FE
	v_mul_f32_dpp v250, v254, v170 quad_perm:[2,2,2,2] row_mask:0xf bank_mask:0xf// 0000000275B4: 0BF554FA FF00AAFE
	v_mul_f32_dpp v251, v254, v171 quad_perm:[3,3,3,3] row_mask:0xf bank_mask:0xf// 0000000275BC: 0BF756FA FF00FFFE
	v_mul_f32_dpp v252, v255, v172 quad_perm:[0,0,0,0] row_mask:0xf bank_mask:0xf// 0000000275C4: 0BF958FA FF0000FF
	v_mul_f32_dpp v253, v255, v173 quad_perm:[1,1,1,1] row_mask:0xf bank_mask:0xf// 0000000275CC: 0BFB5AFA FF0055FF
	v_mul_f32_dpp v254, v255, v174 quad_perm:[2,2,2,2] row_mask:0xf bank_mask:0xf// 0000000275D4: 0BFD5CFA FF00AAFF
	v_mul_f32_dpp v255, v255, v175 quad_perm:[3,3,3,3] row_mask:0xf bank_mask:0xf// 0000000275DC: 0BFF5EFA FF00FFFF
	v_mov_b32_e32 v48, 0x358637bd                              // 0000000275E4: 7E6002FF 358637BD
	v_max3_f32 v48, |v240|, |v241|, v48                        // 0000000275EC: D1D30330 04C3E3F0
	v_max3_f32 v48, |v242|, |v243|, v48                        // 0000000275F4: D1D30330 04C3E7F2
	v_max3_f32 v48, |v244|, |v245|, v48                        // 0000000275FC: D1D30330 04C3EBF4
	v_max3_f32 v48, |v246|, |v247|, v48                        // 000000027604: D1D30330 04C3EFF6
	v_max3_f32 v48, |v248|, |v249|, v48                        // 00000002760C: D1D30330 04C3F3F8
	v_max3_f32 v48, |v250|, |v251|, v48                        // 000000027614: D1D30330 04C3F7FA
	v_max3_f32 v48, |v252|, |v253|, v48                        // 00000002761C: D1D30330 04C3FBFC
	v_max3_f32 v48, |v254|, |v255|, v48                        // 000000027624: D1D30330 04C3FFFE
	ds_write_b32 v8, v48 offset:20992                          // 00000002762C: D81A5200 00003008
	v_sub_f32_e32 v52, v14, v15                                // 000000027634: 04681F0E
	v_cndmask_b32_e64 v52, v52, 0, s[40:41]                    // 000000027638: D1000034 00A10134
	v_mov_b32_e32 v14, v15                                     // 000000027640: 7E1C030F
	v_mul_f32_e32 v52, s64, v52                                // 000000027644: 0A686840
	v_exp_f32_e32 v52, v52                                     // 000000027648: 7E684134
	s_waitcnt lgkmcnt(0)                                       // 00000002764C: BF8CC07F
	s_barrier                                                  // 000000027650: BF8A0000
	ds_read_b32 v64, v7 offset:20992                           // 000000027654: D86C5200 40000007
	ds_read_b32 v65, v7 offset:21056                           // 00000002765C: D86C5240 41000007
	ds_read_b32 v66, v7 offset:21120                           // 000000027664: D86C5280 42000007
	ds_read_b32 v67, v7 offset:21184                           // 00000002766C: D86C52C0 43000007
	ds_read_b32 v68, v7 offset:21248                           // 000000027674: D86C5300 44000007
	ds_read_b32 v69, v7 offset:21312                           // 00000002767C: D86C5340 45000007
	ds_read_b32 v70, v7 offset:21376                           // 000000027684: D86C5380 46000007
	ds_read_b32 v71, v7 offset:21440                           // 00000002768C: D86C53C0 47000007
	ds_read_b32 v72, v7 offset:21504                           // 000000027694: D86C5400 48000007
	ds_read_b32 v73, v7 offset:21568                           // 00000002769C: D86C5440 49000007
	ds_read_b32 v74, v7 offset:21632                           // 0000000276A4: D86C5480 4A000007
	ds_read_b32 v75, v7 offset:21696                           // 0000000276AC: D86C54C0 4B000007
	ds_read_b32 v76, v7 offset:21760                           // 0000000276B4: D86C5500 4C000007
	ds_read_b32 v77, v7 offset:21824                           // 0000000276BC: D86C5540 4D000007
	ds_read_b32 v78, v7 offset:21888                           // 0000000276C4: D86C5580 4E000007
	ds_read_b32 v79, v7 offset:21952                           // 0000000276CC: D86C55C0 4F000007
	v_mul_f32_e32 v41, v52, v41                                // 0000000276D4: 0A525334
	v_mov_b32_e32 v15, v160                                    // 0000000276D8: 7E1E03A0
	v_add_f32_e32 v15, v161, v15                               // 0000000276DC: 021E1FA1
	v_add_f32_e32 v15, v162, v15                               // 0000000276E0: 021E1FA2
	v_add_f32_e32 v15, v163, v15                               // 0000000276E4: 021E1FA3
	v_add_f32_e32 v15, v164, v15                               // 0000000276E8: 021E1FA4
	v_add_f32_e32 v15, v165, v15                               // 0000000276EC: 021E1FA5
	v_add_f32_e32 v15, v166, v15                               // 0000000276F0: 021E1FA6
	v_add_f32_e32 v15, v167, v15                               // 0000000276F4: 021E1FA7
	v_add_f32_e32 v15, v168, v15                               // 0000000276F8: 021E1FA8
	v_add_f32_e32 v15, v169, v15                               // 0000000276FC: 021E1FA9
	v_add_f32_e32 v15, v170, v15                               // 000000027700: 021E1FAA
	v_add_f32_e32 v15, v171, v15                               // 000000027704: 021E1FAB
	v_add_f32_e32 v15, v172, v15                               // 000000027708: 021E1FAC
	v_add_f32_e32 v15, v173, v15                               // 00000002770C: 021E1FAD
	v_add_f32_e32 v15, v174, v15                               // 000000027710: 021E1FAE
	v_add_f32_e32 v15, v175, v15                               // 000000027714: 021E1FAF
	v_add_f32_e32 v41, v15, v41                                // 000000027718: 0252530F
	s_waitcnt lgkmcnt(0)                                       // 00000002771C: BF8CC07F
	v_max3_f32 v48, |v64|, |v65|, v48                          // 000000027720: D1D30330 04C28340
	v_max3_f32 v48, |v66|, |v67|, v48                          // 000000027728: D1D30330 04C28742
	v_max3_f32 v48, |v68|, |v69|, v48                          // 000000027730: D1D30330 04C28B44
	v_max3_f32 v48, |v70|, |v71|, v48                          // 000000027738: D1D30330 04C28F46
	v_max3_f32 v48, |v72|, |v73|, v48                          // 000000027740: D1D30330 04C29348
	v_max3_f32 v48, |v74|, |v75|, v48                          // 000000027748: D1D30330 04C2974A
	v_max3_f32 v48, |v76|, |v77|, v48                          // 000000027750: D1D30330 04C29B4C
	v_max3_f32 v48, |v78|, |v79|, v48                          // 000000027758: D1D30330 04C29F4E
	s_nop 2                                                    // 000000027760: BF800002
	v_rcp_f32_e32 v48, v48                                     // 000000027764: 7E604530
	s_nop 1                                                    // 000000027768: BF800001
	v_mul_f32_e32 v48, 0x42fe0000, v48                         // 00000002776C: 0A6060FF 42FE0000
	v_mul_f32_e32 v160, v48, v240                              // 000000027774: 0B41E130
	v_mul_f32_e32 v161, v48, v241                              // 000000027778: 0B43E330
	v_mul_f32_e32 v162, v48, v242                              // 00000002777C: 0B45E530
	v_mul_f32_e32 v163, v48, v243                              // 000000027780: 0B47E730
	v_mul_f32_e32 v164, v48, v244                              // 000000027784: 0B49E930
	v_mul_f32_e32 v165, v48, v245                              // 000000027788: 0B4BEB30
	v_mul_f32_e32 v166, v48, v246                              // 00000002778C: 0B4DED30
	v_mul_f32_e32 v167, v48, v247                              // 000000027790: 0B4FEF30
	v_mul_f32_e32 v168, v48, v248                              // 000000027794: 0B51F130
	v_mul_f32_e32 v169, v48, v249                              // 000000027798: 0B53F330
	v_mul_f32_e32 v170, v48, v250                              // 00000002779C: 0B55F530
	v_mul_f32_e32 v171, v48, v251                              // 0000000277A0: 0B57F730
	v_mul_f32_e32 v172, v48, v252                              // 0000000277A4: 0B59F930
	v_mul_f32_e32 v173, v48, v253                              // 0000000277A8: 0B5BFB30
	v_mul_f32_e32 v174, v48, v254                              // 0000000277AC: 0B5DFD30
	v_mul_f32_e32 v175, v48, v255                              // 0000000277B0: 0B5FFF30
	v_cvt_i32_f32_e32 v160, v160                               // 0000000277B4: 7F4011A0
	v_cvt_i32_f32_e32 v161, v161                               // 0000000277B8: 7F4211A1
	v_cvt_i32_f32_e32 v162, v162                               // 0000000277BC: 7F4411A2
	v_cvt_i32_f32_e32 v163, v163                               // 0000000277C0: 7F4611A3
	v_cvt_i32_f32_e32 v164, v164                               // 0000000277C4: 7F4811A4
	v_cvt_i32_f32_e32 v165, v165                               // 0000000277C8: 7F4A11A5
	v_cvt_i32_f32_e32 v166, v166                               // 0000000277CC: 7F4C11A6
	v_cvt_i32_f32_e32 v167, v167                               // 0000000277D0: 7F4E11A7
	v_cvt_i32_f32_e32 v168, v168                               // 0000000277D4: 7F5011A8
	v_cvt_i32_f32_e32 v169, v169                               // 0000000277D8: 7F5211A9
	v_cvt_i32_f32_e32 v170, v170                               // 0000000277DC: 7F5411AA
	v_cvt_i32_f32_e32 v171, v171                               // 0000000277E0: 7F5611AB
	v_cvt_i32_f32_e32 v172, v172                               // 0000000277E4: 7F5811AC
	v_cvt_i32_f32_e32 v173, v173                               // 0000000277E8: 7F5A11AD
	v_cvt_i32_f32_e32 v174, v174                               // 0000000277EC: 7F5C11AE
	v_cvt_i32_f32_e32 v175, v175                               // 0000000277F0: 7F5E11AF
	v_perm_b32 v160, v161, v160, s53                           // 0000000277F4: D1ED00A0 00D741A1
	v_perm_b32 v160, v162, v160, s54                           // 0000000277FC: D1ED00A0 00DB41A2
	v_perm_b32 v160, v163, v160, s55                           // 000000027804: D1ED00A0 00DF41A3
	v_perm_b32 v161, v165, v164, s53                           // 00000002780C: D1ED00A1 00D749A5
	v_perm_b32 v161, v166, v161, s54                           // 000000027814: D1ED00A1 00DB43A6
	v_perm_b32 v161, v167, v161, s55                           // 00000002781C: D1ED00A1 00DF43A7
	v_perm_b32 v162, v169, v168, s53                           // 000000027824: D1ED00A2 00D751A9
	v_perm_b32 v162, v170, v162, s54                           // 00000002782C: D1ED00A2 00DB45AA
	v_perm_b32 v162, v171, v162, s55                           // 000000027834: D1ED00A2 00DF45AB
	v_perm_b32 v163, v173, v172, s53                           // 00000002783C: D1ED00A3 00D759AD
	v_perm_b32 v163, v174, v163, s54                           // 000000027844: D1ED00A3 00DB47AE
	v_perm_b32 v163, v175, v163, s55                           // 00000002784C: D1ED00A3 00DF47AF
	ds_write_b32 v10, v160 offset:37376                        // 000000027854: D81A9200 0000A00A
	ds_write_b32 v10, v161 offset:38400                        // 00000002785C: D81A9600 0000A10A
	ds_write_b32 v10, v162 offset:39424                        // 000000027864: D81A9A00 0000A20A
	ds_write_b32 v10, v163 offset:40448                        // 00000002786C: D81A9E00 0000A30A
	v_add_f32_e32 v232, v232, v200                             // 000000027874: 03D191E8
	v_add_f32_e32 v233, v233, v201                             // 000000027878: 03D393E9
	v_add_f32_e32 v234, v234, v202                             // 00000002787C: 03D595EA
	v_add_f32_e32 v235, v235, v203                             // 000000027880: 03D797EB
	v_add_f32_e32 v236, v236, v204                             // 000000027884: 03D999EC
	v_add_f32_e32 v237, v237, v205                             // 000000027888: 03DB9BED
	v_add_f32_e32 v238, v238, v206                             // 00000002788C: 03DD9DEE
	v_add_f32_e32 v239, v239, v207                             // 000000027890: 03DF9FEF
	v_rcp_f32_e32 v47, v48                                     // 000000027894: 7E5E4530
	s_waitcnt lgkmcnt(0)                                       // 000000027898: BF8CC07F
	s_barrier                                                  // 00000002789C: BF8A0000
	ds_read_b64 v[160:161], v9 offset:37376                    // 0000000278A0: D8EC9200 A0000009
	ds_read_b64 v[162:163], v9 offset:37504                    // 0000000278A8: D8EC9280 A2000009
	ds_read_b64 v[164:165], v9 offset:38400                    // 0000000278B0: D8EC9600 A4000009
	ds_read_b64 v[166:167], v9 offset:38528                    // 0000000278B8: D8EC9680 A6000009
	ds_read_b64 v[168:169], v9 offset:39424                    // 0000000278C0: D8EC9A00 A8000009
	ds_read_b64 v[170:171], v9 offset:39552                    // 0000000278C8: D8EC9A80 AA000009
	ds_read_b64 v[172:173], v9 offset:40448                    // 0000000278D0: D8EC9E00 AC000009
	ds_read_b64 v[174:175], v9 offset:40576                    // 0000000278D8: D8EC9E80 AE000009
	s_waitcnt vmcnt(15)                                        // 0000000278E0: BF8C0F7F
	v_mfma_i32_16x16x32_i8 v[176:179], a[64:65], v[112:113], 0 // 0000000278E4: D3D700B0 0A02E140
	buffer_load_dwordx4 a[112:115], v34, s[20:23], 0 offen offset:1024// 0000000278EC: E05C1400 80857022
	v_mfma_i32_16x16x32_i8 v[176:179], a[66:67], v[114:115], v[176:179]// 0000000278F4: D3D700B0 0EC2E542
	v_mfma_i32_16x16x32_i8 v[176:179], a[68:69], v[116:117], v[176:179]// 0000000278FC: D3D700B0 0EC2E944
	v_mfma_i32_16x16x32_i8 v[176:179], a[70:71], v[118:119], v[176:179]// 000000027904: D3D700B0 0EC2ED46
	v_mfma_i32_16x16x32_i8 v[176:179], a[72:73], v[120:121], v[176:179]// 00000002790C: D3D700B0 0EC2F148
	buffer_load_dwordx4 a[116:119], v35, s[20:23], 0 offen offset:1024// 000000027914: E05C1400 80857423
	v_mfma_i32_16x16x32_i8 v[176:179], a[74:75], v[122:123], v[176:179]// 00000002791C: D3D700B0 0EC2F54A
	v_mfma_i32_16x16x32_i8 v[176:179], a[76:77], v[124:125], v[176:179]// 000000027924: D3D700B0 0EC2F94C
	v_mfma_i32_16x16x32_i8 v[176:179], a[78:79], v[126:127], v[176:179]// 00000002792C: D3D700B0 0EC2FD4E
	v_mfma_i32_16x16x32_i8 v[180:183], a[80:81], v[112:113], 0 // 000000027934: D3D700B4 0A02E150
	buffer_load_dwordx4 a[120:123], v36, s[20:23], 0 offen offset:1024// 00000002793C: E05C1400 80857824
	v_mfma_i32_16x16x32_i8 v[180:183], a[82:83], v[114:115], v[180:183]// 000000027944: D3D700B4 0ED2E552
	v_mfma_i32_16x16x32_i8 v[180:183], a[84:85], v[116:117], v[180:183]// 00000002794C: D3D700B4 0ED2E954
	v_mfma_i32_16x16x32_i8 v[180:183], a[86:87], v[118:119], v[180:183]// 000000027954: D3D700B4 0ED2ED56
	v_mfma_i32_16x16x32_i8 v[180:183], a[88:89], v[120:121], v[180:183]// 00000002795C: D3D700B4 0ED2F158
	buffer_load_dwordx4 a[124:127], v37, s[20:23], 0 offen offset:1024// 000000027964: E05C1400 80857C25
	v_mfma_i32_16x16x32_i8 v[180:183], a[90:91], v[122:123], v[180:183]// 00000002796C: D3D700B4 0ED2F55A
	v_mfma_i32_16x16x32_i8 v[180:183], a[92:93], v[124:125], v[180:183]// 000000027974: D3D700B4 0ED2F95C
	s_lshr_b32 s57, s70, 4                                     // 00000002797C: 8F398446
	s_add_u32 s57, 48, s57                                     // 000000027980: 803939B0
	v_mfma_i32_16x16x32_i8 v[180:183], a[94:95], v[126:127], v[180:183]// 000000027984: D3D700B4 0ED2FD5E
	s_cmp_ge_u32 s57, s73                                      // 00000002798C: BF094939
	s_cselect_b32 s56, 0, s56                                  // 000000027990: 85383880
	v_mfma_i32_16x16x32_i8 v[184:187], a[64:65], v[128:129], 0 // 000000027994: D3D700B8 0A030140
	v_mfma_i32_16x16x32_i8 v[184:187], a[66:67], v[130:131], v[184:187]// 00000002799C: D3D700B8 0EE30542
	v_mfma_i32_16x16x32_i8 v[184:187], a[68:69], v[132:133], v[184:187]// 0000000279A4: D3D700B8 0EE30944
	v_mfma_i32_16x16x32_i8 v[184:187], a[70:71], v[134:135], v[184:187]// 0000000279AC: D3D700B8 0EE30D46
	v_mfma_i32_16x16x32_i8 v[184:187], a[72:73], v[136:137], v[184:187]// 0000000279B4: D3D700B8 0EE31148
	v_mfma_i32_16x16x32_i8 v[184:187], a[74:75], v[138:139], v[184:187]// 0000000279BC: D3D700B8 0EE3154A
	v_mfma_i32_16x16x32_i8 v[184:187], a[76:77], v[140:141], v[184:187]// 0000000279C4: D3D700B8 0EE3194C
	v_mfma_i32_16x16x32_i8 v[184:187], a[78:79], v[142:143], v[184:187]// 0000000279CC: D3D700B8 0EE31D4E
	v_mfma_i32_16x16x32_i8 v[188:191], a[80:81], v[128:129], 0 // 0000000279D4: D3D700BC 0A030150
	v_mfma_i32_16x16x32_i8 v[188:191], a[82:83], v[130:131], v[188:191]// 0000000279DC: D3D700BC 0EF30552
	v_mfma_i32_16x16x32_i8 v[188:191], a[84:85], v[132:133], v[188:191]// 0000000279E4: D3D700BC 0EF30954
	v_mfma_i32_16x16x32_i8 v[188:191], a[86:87], v[134:135], v[188:191]// 0000000279EC: D3D700BC 0EF30D56
	v_mfma_i32_16x16x32_i8 v[188:191], a[88:89], v[136:137], v[188:191]// 0000000279F4: D3D700BC 0EF31158
	v_mfma_i32_16x16x32_i8 v[188:191], a[90:91], v[138:139], v[188:191]// 0000000279FC: D3D700BC 0EF3155A
	v_mfma_i32_16x16x32_i8 v[188:191], a[92:93], v[140:141], v[188:191]// 000000027A04: D3D700BC 0EF3195C
	v_mfma_i32_16x16x32_i8 v[188:191], a[94:95], v[142:143], v[188:191]// 000000027A0C: D3D700BC 0EF31D5E
	v_mfma_i32_16x16x32_i8 v[192:195], a[64:65], v[144:145], 0 // 000000027A14: D3D700C0 0A032140
	v_mfma_i32_16x16x32_i8 v[192:195], a[66:67], v[146:147], v[192:195]// 000000027A1C: D3D700C0 0F032542
	v_mfma_i32_16x16x32_i8 v[192:195], a[68:69], v[148:149], v[192:195]// 000000027A24: D3D700C0 0F032944
	v_mfma_i32_16x16x32_i8 v[192:195], a[70:71], v[150:151], v[192:195]// 000000027A2C: D3D700C0 0F032D46
	v_mfma_i32_16x16x32_i8 v[192:195], a[72:73], v[152:153], v[192:195]// 000000027A34: D3D700C0 0F033148
	v_mfma_i32_16x16x32_i8 v[192:195], a[74:75], v[154:155], v[192:195]// 000000027A3C: D3D700C0 0F03354A
	v_mfma_i32_16x16x32_i8 v[192:195], a[76:77], v[156:157], v[192:195]// 000000027A44: D3D700C0 0F03394C
	v_mfma_i32_16x16x32_i8 v[192:195], a[78:79], v[158:159], v[192:195]// 000000027A4C: D3D700C0 0F033D4E
	v_mfma_i32_16x16x32_i8 v[196:199], a[80:81], v[144:145], 0 // 000000027A54: D3D700C4 0A032150
	v_mfma_i32_16x16x32_i8 v[196:199], a[82:83], v[146:147], v[196:199]// 000000027A5C: D3D700C4 0F132552
	v_mfma_i32_16x16x32_i8 v[196:199], a[84:85], v[148:149], v[196:199]// 000000027A64: D3D700C4 0F132954
	v_mfma_i32_16x16x32_i8 v[196:199], a[86:87], v[150:151], v[196:199]// 000000027A6C: D3D700C4 0F132D56
	v_mfma_i32_16x16x32_i8 v[196:199], a[88:89], v[152:153], v[196:199]// 000000027A74: D3D700C4 0F133158
	v_mfma_i32_16x16x32_i8 v[196:199], a[90:91], v[154:155], v[196:199]// 000000027A7C: D3D700C4 0F13355A
	v_mfma_i32_16x16x32_i8 v[196:199], a[92:93], v[156:157], v[196:199]// 000000027A84: D3D700C4 0F13395C
	v_mfma_i32_16x16x32_i8 v[196:199], a[94:95], v[158:159], v[196:199]// 000000027A8C: D3D700C4 0F133D5E
	v_mfma_i32_16x16x32_i8 v[200:203], a[64:65], v[160:161], 0 // 000000027A94: D3D700C8 0A034140
	v_mfma_i32_16x16x32_i8 v[200:203], a[66:67], v[162:163], v[200:203]// 000000027A9C: D3D700C8 0F234542
	v_mfma_i32_16x16x32_i8 v[200:203], a[68:69], v[164:165], v[200:203]// 000000027AA4: D3D700C8 0F234944
	v_mfma_i32_16x16x32_i8 v[200:203], a[70:71], v[166:167], v[200:203]// 000000027AAC: D3D700C8 0F234D46
	v_mfma_i32_16x16x32_i8 v[200:203], a[72:73], v[168:169], v[200:203]// 000000027AB4: D3D700C8 0F235148
	v_mfma_i32_16x16x32_i8 v[200:203], a[74:75], v[170:171], v[200:203]// 000000027ABC: D3D700C8 0F23554A
	v_mfma_i32_16x16x32_i8 v[200:203], a[76:77], v[172:173], v[200:203]// 000000027AC4: D3D700C8 0F23594C
	v_mfma_i32_16x16x32_i8 v[200:203], a[78:79], v[174:175], v[200:203]// 000000027ACC: D3D700C8 0F235D4E
	v_mfma_i32_16x16x32_i8 v[204:207], a[80:81], v[160:161], 0 // 000000027AD4: D3D700CC 0A034150
	v_mfma_i32_16x16x32_i8 v[204:207], a[82:83], v[162:163], v[204:207]// 000000027ADC: D3D700CC 0F334552
	v_mfma_i32_16x16x32_i8 v[204:207], a[84:85], v[164:165], v[204:207]// 000000027AE4: D3D700CC 0F334954
	v_mfma_i32_16x16x32_i8 v[204:207], a[86:87], v[166:167], v[204:207]// 000000027AEC: D3D700CC 0F334D56
	v_mfma_i32_16x16x32_i8 v[204:207], a[88:89], v[168:169], v[204:207]// 000000027AF4: D3D700CC 0F335158
	v_mfma_i32_16x16x32_i8 v[204:207], a[90:91], v[170:171], v[204:207]// 000000027AFC: D3D700CC 0F33555A
	v_mfma_i32_16x16x32_i8 v[204:207], a[92:93], v[172:173], v[204:207]// 000000027B04: D3D700CC 0F33595C
	v_mfma_i32_16x16x32_i8 v[204:207], a[94:95], v[174:175], v[204:207]// 000000027B0C: D3D700CC 0F335D5E
	v_add_u32_e32 v1, s56, v1                                  // 000000027B14: 68020238
	s_addk_i32 s70, 0x100                                      // 000000027B18: B7460100
	s_cmp_lt_i32 s70, s71                                      // 000000027B1C: BF044746
	s_cbranch_scc0 label_8B8B                                  // 000000027B20: BF84F542
	s_waitcnt vmcnt(8) lgkmcnt(0)                              // 000000027B24: BF8C0078
	v_mul_u32_u24_dpp v64, v16, v54 row_newbcast:0 row_mask:0xf bank_mask:0xf// 000000027B28: 10806CFA FF015010
	v_mul_u32_u24_dpp v65, v16, v54 row_newbcast:4 row_mask:0xf bank_mask:0xf// 000000027B30: 10826CFA FF015410
	v_mul_u32_u24_dpp v66, v16, v54 row_newbcast:8 row_mask:0xf bank_mask:0xf// 000000027B38: 10846CFA FF015810
	v_mul_u32_u24_dpp v67, v16, v54 row_newbcast:12 row_mask:0xf bank_mask:0xf// 000000027B40: 10866CFA FF015C10
	v_add_u32_e32 v22, v64, v5                                 // 000000027B48: 682C0B40
	v_add_u32_e32 v23, v65, v5                                 // 000000027B4C: 682E0B41
	v_add_u32_e32 v24, v66, v5                                 // 000000027B50: 68300B42
	v_add_u32_e32 v25, v67, v5                                 // 000000027B54: 68320B43
	v_mul_u32_u24_dpp v64, v16, v63 quad_perm:[0,0,0,0] row_mask:0xf bank_mask:0xf// 000000027B58: 10807EFA FF000010
	v_add_u32_e32 v2, v64, v59                                 // 000000027B60: 68047740
	v_mul_u32_u24_dpp v64, v16, v63 quad_perm:[0,0,0,0] row_mask:0xf bank_mask:0xf// 000000027B64: 10807EFA FF000010
	v_add_u32_e32 v55, v64, v60                                // 000000027B6C: 686E7940
	v_mfma_i32_16x16x32_i8 v[112:115], a[32:33], v[80:81], 0   // 000000027B70: D3D70070 0A02A120
	buffer_load_dwordx4 a[0:3], v22, s[16:19], 0 offen         // 000000027B78: E05C1000 80840016
	v_mfma_i32_16x16x32_i8 v[112:115], a[34:35], v[82:83], v[112:115]// 000000027B80: D3D70070 0DC2A522
	v_mfma_i32_16x16x32_i8 v[112:115], a[36:37], v[84:85], v[112:115]// 000000027B88: D3D70070 0DC2A924
	buffer_load_dword v17, v1, s[24:27], 0 offen               // 000000027B90: E0501000 80061101
	v_mfma_i32_16x16x32_i8 v[112:115], a[38:39], v[86:87], v[112:115]// 000000027B98: D3D70070 0DC2AD26
	v_mfma_i32_16x16x32_i8 v[116:119], a[40:41], v[80:81], 0   // 000000027BA0: D3D70074 0A02A128
	buffer_load_dwordx4 a[4:7], v22, s[16:19], 0 offen offset:1024// 000000027BA8: E05C1400 80840416
	v_mfma_i32_16x16x32_i8 v[116:119], a[42:43], v[82:83], v[116:119]// 000000027BB0: D3D70074 0DD2A52A
	v_mfma_i32_16x16x32_i8 v[116:119], a[44:45], v[84:85], v[116:119]// 000000027BB8: D3D70074 0DD2A92C
	v_mfma_i32_16x16x32_i8 v[116:119], a[46:47], v[86:87], v[116:119]// 000000027BC0: D3D70074 0DD2AD2E
	v_mfma_i32_16x16x32_i8 v[120:123], a[48:49], v[80:81], 0   // 000000027BC8: D3D70078 0A02A130
	buffer_load_dwordx4 a[8:11], v23, s[16:19], 0 offen        // 000000027BD0: E05C1000 80840817
	v_mfma_i32_16x16x32_i8 v[120:123], a[50:51], v[82:83], v[120:123]// 000000027BD8: D3D70078 0DE2A532
	v_mfma_i32_16x16x32_i8 v[120:123], a[52:53], v[84:85], v[120:123]// 000000027BE0: D3D70078 0DE2A934
	v_mfma_i32_16x16x32_i8 v[120:123], a[54:55], v[86:87], v[120:123]// 000000027BE8: D3D70078 0DE2AD36
	v_mfma_i32_16x16x32_i8 v[124:127], a[56:57], v[80:81], 0   // 000000027BF0: D3D7007C 0A02A138
	buffer_load_dwordx4 a[12:15], v23, s[16:19], 0 offen offset:1024// 000000027BF8: E05C1400 80840C17
	v_mfma_i32_16x16x32_i8 v[124:127], a[58:59], v[82:83], v[124:127]// 000000027C00: D3D7007C 0DF2A53A
	v_mfma_i32_16x16x32_i8 v[124:127], a[60:61], v[84:85], v[124:127]// 000000027C08: D3D7007C 0DF2A93C
	v_mfma_i32_16x16x32_i8 v[124:127], a[62:63], v[86:87], v[124:127]// 000000027C10: D3D7007C 0DF2AD3E
	v_mfma_i32_16x16x32_i8 v[128:131], a[32:33], v[88:89], 0   // 000000027C18: D3D70080 0A02B120
	v_mfma_i32_16x16x32_i8 v[128:131], a[34:35], v[90:91], v[128:131]// 000000027C20: D3D70080 0E02B522
	v_mfma_i32_16x16x32_i8 v[128:131], a[36:37], v[92:93], v[128:131]// 000000027C28: D3D70080 0E02B924
	v_mfma_i32_16x16x32_i8 v[128:131], a[38:39], v[94:95], v[128:131]// 000000027C30: D3D70080 0E02BD26
	v_mfma_i32_16x16x32_i8 v[132:135], a[40:41], v[88:89], 0   // 000000027C38: D3D70084 0A02B128
	v_mfma_i32_16x16x32_i8 v[132:135], a[42:43], v[90:91], v[132:135]// 000000027C40: D3D70084 0E12B52A
	v_mfma_i32_16x16x32_i8 v[132:135], a[44:45], v[92:93], v[132:135]// 000000027C48: D3D70084 0E12B92C
	v_mfma_i32_16x16x32_i8 v[132:135], a[46:47], v[94:95], v[132:135]// 000000027C50: D3D70084 0E12BD2E
	v_mfma_i32_16x16x32_i8 v[136:139], a[48:49], v[88:89], 0   // 000000027C58: D3D70088 0A02B130
	v_mfma_i32_16x16x32_i8 v[136:139], a[50:51], v[90:91], v[136:139]// 000000027C60: D3D70088 0E22B532
	v_mfma_i32_16x16x32_i8 v[136:139], a[52:53], v[92:93], v[136:139]// 000000027C68: D3D70088 0E22B934
	v_mfma_i32_16x16x32_i8 v[136:139], a[54:55], v[94:95], v[136:139]// 000000027C70: D3D70088 0E22BD36
	v_mfma_i32_16x16x32_i8 v[140:143], a[56:57], v[88:89], 0   // 000000027C78: D3D7008C 0A02B138
	v_mfma_i32_16x16x32_i8 v[140:143], a[58:59], v[90:91], v[140:143]// 000000027C80: D3D7008C 0E32B53A
	v_mfma_i32_16x16x32_i8 v[140:143], a[60:61], v[92:93], v[140:143]// 000000027C88: D3D7008C 0E32B93C
	v_mfma_i32_16x16x32_i8 v[140:143], a[62:63], v[94:95], v[140:143]// 000000027C90: D3D7008C 0E32BD3E
	v_mfma_i32_16x16x32_i8 v[144:147], a[32:33], v[96:97], 0   // 000000027C98: D3D70090 0A02C120
	v_mfma_i32_16x16x32_i8 v[144:147], a[34:35], v[98:99], v[144:147]// 000000027CA0: D3D70090 0E42C522
	v_mfma_i32_16x16x32_i8 v[144:147], a[36:37], v[100:101], v[144:147]// 000000027CA8: D3D70090 0E42C924
	v_mfma_i32_16x16x32_i8 v[144:147], a[38:39], v[102:103], v[144:147]// 000000027CB0: D3D70090 0E42CD26
	v_mfma_i32_16x16x32_i8 v[148:151], a[40:41], v[96:97], 0   // 000000027CB8: D3D70094 0A02C128
	v_mfma_i32_16x16x32_i8 v[148:151], a[42:43], v[98:99], v[148:151]// 000000027CC0: D3D70094 0E52C52A
	v_mfma_i32_16x16x32_i8 v[148:151], a[44:45], v[100:101], v[148:151]// 000000027CC8: D3D70094 0E52C92C
	v_mfma_i32_16x16x32_i8 v[148:151], a[46:47], v[102:103], v[148:151]// 000000027CD0: D3D70094 0E52CD2E
	v_mfma_i32_16x16x32_i8 v[152:155], a[48:49], v[96:97], 0   // 000000027CD8: D3D70098 0A02C130
	v_mfma_i32_16x16x32_i8 v[152:155], a[50:51], v[98:99], v[152:155]// 000000027CE0: D3D70098 0E62C532
	v_mfma_i32_16x16x32_i8 v[152:155], a[52:53], v[100:101], v[152:155]// 000000027CE8: D3D70098 0E62C934
	v_mfma_i32_16x16x32_i8 v[152:155], a[54:55], v[102:103], v[152:155]// 000000027CF0: D3D70098 0E62CD36
	v_mfma_i32_16x16x32_i8 v[156:159], a[56:57], v[96:97], 0   // 000000027CF8: D3D7009C 0A02C138
	v_mfma_i32_16x16x32_i8 v[156:159], a[58:59], v[98:99], v[156:159]// 000000027D00: D3D7009C 0E72C53A
	v_mfma_i32_16x16x32_i8 v[156:159], a[60:61], v[100:101], v[156:159]// 000000027D08: D3D7009C 0E72C93C
	v_mfma_i32_16x16x32_i8 v[156:159], a[62:63], v[102:103], v[156:159]// 000000027D10: D3D7009C 0E72CD3E
	v_mfma_i32_16x16x32_i8 v[160:163], a[32:33], v[104:105], 0 // 000000027D18: D3D700A0 0A02D120
	v_mfma_i32_16x16x32_i8 v[160:163], a[34:35], v[106:107], v[160:163]// 000000027D20: D3D700A0 0E82D522
	v_mfma_i32_16x16x32_i8 v[160:163], a[36:37], v[108:109], v[160:163]// 000000027D28: D3D700A0 0E82D924
	v_mfma_i32_16x16x32_i8 v[160:163], a[38:39], v[110:111], v[160:163]// 000000027D30: D3D700A0 0E82DD26
	v_mfma_i32_16x16x32_i8 v[164:167], a[40:41], v[104:105], 0 // 000000027D38: D3D700A4 0A02D128
	v_mfma_i32_16x16x32_i8 v[164:167], a[42:43], v[106:107], v[164:167]// 000000027D40: D3D700A4 0E92D52A
	v_mfma_i32_16x16x32_i8 v[164:167], a[44:45], v[108:109], v[164:167]// 000000027D48: D3D700A4 0E92D92C
	v_mfma_i32_16x16x32_i8 v[164:167], a[46:47], v[110:111], v[164:167]// 000000027D50: D3D700A4 0E92DD2E
	v_mfma_i32_16x16x32_i8 v[168:171], a[48:49], v[104:105], 0 // 000000027D58: D3D700A8 0A02D130
	v_mfma_i32_16x16x32_i8 v[168:171], a[50:51], v[106:107], v[168:171]// 000000027D60: D3D700A8 0EA2D532
	v_mfma_i32_16x16x32_i8 v[168:171], a[52:53], v[108:109], v[168:171]// 000000027D68: D3D700A8 0EA2D934
	v_mfma_i32_16x16x32_i8 v[168:171], a[54:55], v[110:111], v[168:171]// 000000027D70: D3D700A8 0EA2DD36
	v_mfma_i32_16x16x32_i8 v[172:175], a[56:57], v[104:105], 0 // 000000027D78: D3D700AC 0A02D138
	v_mfma_i32_16x16x32_i8 v[172:175], a[58:59], v[106:107], v[172:175]// 000000027D80: D3D700AC 0EB2D53A
	v_mfma_i32_16x16x32_i8 v[172:175], a[60:61], v[108:109], v[172:175]// 000000027D88: D3D700AC 0EB2D93C
	v_mfma_i32_16x16x32_i8 v[172:175], a[62:63], v[110:111], v[172:175]// 000000027D90: D3D700AC 0EB2DD3E
	buffer_load_dword v42, v2, s[32:35], 0 offen               // 000000027D98: E0501000 80082A02
	v_mov_b32_dpp v64, v43 row_shr:4 row_mask:0xf bank_mask:0xf// 000000027DA0: 7E8002FA FF01142B
	v_mov_b32_dpp v65, v43 row_shl:4 row_mask:0xf bank_mask:0xf// 000000027DA8: 7E8202FA FF01042B
	v_cndmask_b32_e64 v248, v43, v64, s[44:45]                 // 000000027DB0: D10000F8 00B2812B
	v_cndmask_b32_e64 v249, v65, v43, s[44:45]                 // 000000027DB8: D10000F9 00B25741
	v_mov_b32_dpp v64, v248 row_shr:8 row_mask:0xf bank_mask:0xf// 000000027DC0: 7E8002FA FF0118F8
	v_mov_b32_dpp v65, v248 row_shl:8 row_mask:0xf bank_mask:0xf// 000000027DC8: 7E8202FA FF0108F8
	v_mov_b32_dpp v66, v249 row_shr:8 row_mask:0xf bank_mask:0xf// 000000027DD0: 7E8402FA FF0118F9
	v_mov_b32_dpp v67, v249 row_shl:8 row_mask:0xf bank_mask:0xf// 000000027DD8: 7E8602FA FF0108F9
	v_mov_b32_e32 v68, v248                                    // 000000027DE0: 7E8803F8
	v_mov_b32_e32 v69, v249                                    // 000000027DE4: 7E8A03F9
	v_cndmask_b32_e64 v248, v68, v64, s[42:43]                 // 000000027DE8: D10000F8 00AA8144
	v_cndmask_b32_e64 v250, v68, v65, s[78:79]                 // 000000027DF0: D10000FA 013A8344
	v_cndmask_b32_e64 v249, v69, v66, s[42:43]                 // 000000027DF8: D10000F9 00AA8545
	v_cndmask_b32_e64 v251, v69, v67, s[78:79]                 // 000000027E00: D10000FB 013A8745
	v_mov_b32_dpp v64, v58 row_shr:4 row_mask:0xf bank_mask:0xf// 000000027E08: 7E8002FA FF01143A
	v_mov_b32_dpp v65, v58 row_shl:4 row_mask:0xf bank_mask:0xf// 000000027E10: 7E8202FA FF01043A
	v_cndmask_b32_e64 v252, v58, v64, s[44:45]                 // 000000027E18: D10000FC 00B2813A
	v_cndmask_b32_e64 v253, v65, v58, s[44:45]                 // 000000027E20: D10000FD 00B27541
	v_mov_b32_dpp v64, v252 row_shr:8 row_mask:0xf bank_mask:0xf// 000000027E28: 7E8002FA FF0118FC
	v_mov_b32_dpp v65, v252 row_shl:8 row_mask:0xf bank_mask:0xf// 000000027E30: 7E8202FA FF0108FC
	v_mov_b32_dpp v66, v253 row_shr:8 row_mask:0xf bank_mask:0xf// 000000027E38: 7E8402FA FF0118FD
	v_mov_b32_dpp v67, v253 row_shl:8 row_mask:0xf bank_mask:0xf// 000000027E40: 7E8602FA FF0108FD
	v_mov_b32_e32 v68, v252                                    // 000000027E48: 7E8803FC
	v_mov_b32_e32 v69, v253                                    // 000000027E4C: 7E8A03FD
	v_cndmask_b32_e64 v252, v68, v64, s[42:43]                 // 000000027E50: D10000FC 00AA8144
	v_cndmask_b32_e64 v254, v68, v65, s[78:79]                 // 000000027E58: D10000FE 013A8344
	v_cndmask_b32_e64 v253, v69, v66, s[42:43]                 // 000000027E60: D10000FD 00AA8545
	v_cndmask_b32_e64 v255, v69, v67, s[78:79]                 // 000000027E68: D10000FF 013A8745
	buffer_load_dword v57, v55, s[36:39], 0 offen              // 000000027E70: E0501000 80093937
	v_cvt_f32_i32_e32 v112, v112                               // 000000027E78: 7EE00B70
	v_cvt_f32_i32_e32 v113, v113                               // 000000027E7C: 7EE20B71
	v_cvt_f32_i32_e32 v114, v114                               // 000000027E80: 7EE40B72
	v_cvt_f32_i32_e32 v115, v115                               // 000000027E84: 7EE60B73
	v_cvt_f32_i32_e32 v116, v116                               // 000000027E88: 7EE80B74
	v_cvt_f32_i32_e32 v117, v117                               // 000000027E8C: 7EEA0B75
	v_cvt_f32_i32_e32 v118, v118                               // 000000027E90: 7EEC0B76
	v_cvt_f32_i32_e32 v119, v119                               // 000000027E94: 7EEE0B77
	v_cvt_f32_i32_e32 v120, v120                               // 000000027E98: 7EF00B78
	v_cvt_f32_i32_e32 v121, v121                               // 000000027E9C: 7EF20B79
	v_cvt_f32_i32_e32 v122, v122                               // 000000027EA0: 7EF40B7A
	v_cvt_f32_i32_e32 v123, v123                               // 000000027EA4: 7EF60B7B
	v_cvt_f32_i32_e32 v124, v124                               // 000000027EA8: 7EF80B7C
	v_cvt_f32_i32_e32 v125, v125                               // 000000027EAC: 7EFA0B7D
	v_cvt_f32_i32_e32 v126, v126                               // 000000027EB0: 7EFC0B7E
	v_cvt_f32_i32_e32 v127, v127                               // 000000027EB4: 7EFE0B7F
	v_mul_f32_e32 v112, v18, v112                              // 000000027EB8: 0AE0E112
	v_mul_f32_e32 v113, v18, v113                              // 000000027EBC: 0AE2E312
	v_mul_f32_e32 v114, v18, v114                              // 000000027EC0: 0AE4E512
	v_mul_f32_e32 v115, v18, v115                              // 000000027EC4: 0AE6E712
	v_mul_f32_e32 v116, v18, v116                              // 000000027EC8: 0AE8E912
	v_mul_f32_e32 v117, v18, v117                              // 000000027ECC: 0AEAEB12
	v_mul_f32_e32 v118, v18, v118                              // 000000027ED0: 0AECED12
	v_mul_f32_e32 v119, v18, v119                              // 000000027ED4: 0AEEEF12
	v_mul_f32_e32 v120, v18, v120                              // 000000027ED8: 0AF0F112
	v_mul_f32_e32 v121, v18, v121                              // 000000027EDC: 0AF2F312
	v_mul_f32_e32 v122, v18, v122                              // 000000027EE0: 0AF4F512
	v_mul_f32_e32 v123, v18, v123                              // 000000027EE4: 0AF6F712
	v_mul_f32_e32 v124, v18, v124                              // 000000027EE8: 0AF8F912
	v_mul_f32_e32 v125, v18, v125                              // 000000027EEC: 0AFAFB12
	v_mul_f32_e32 v126, v18, v126                              // 000000027EF0: 0AFCFD12
	v_mul_f32_e32 v127, v18, v127                              // 000000027EF4: 0AFEFF12
	buffer_load_dwordx4 a[16:19], v24, s[16:19], 0 offen       // 000000027EF8: E05C1000 80841018
	v_mul_f32_dpp v112, v248, v112 quad_perm:[0,0,0,0] row_mask:0xf bank_mask:0xf// 000000027F00: 0AE0E0FA FF0000F8
	v_mul_f32_dpp v113, v248, v113 quad_perm:[1,1,1,1] row_mask:0xf bank_mask:0xf// 000000027F08: 0AE2E2FA FF0055F8
	v_mul_f32_dpp v114, v248, v114 quad_perm:[2,2,2,2] row_mask:0xf bank_mask:0xf// 000000027F10: 0AE4E4FA FF00AAF8
	v_mul_f32_dpp v115, v248, v115 quad_perm:[3,3,3,3] row_mask:0xf bank_mask:0xf// 000000027F18: 0AE6E6FA FF00FFF8
	v_mul_f32_dpp v116, v249, v116 quad_perm:[0,0,0,0] row_mask:0xf bank_mask:0xf// 000000027F20: 0AE8E8FA FF0000F9
	v_mul_f32_dpp v117, v249, v117 quad_perm:[1,1,1,1] row_mask:0xf bank_mask:0xf// 000000027F28: 0AEAEAFA FF0055F9
	v_mul_f32_dpp v118, v249, v118 quad_perm:[2,2,2,2] row_mask:0xf bank_mask:0xf// 000000027F30: 0AECECFA FF00AAF9
	v_mul_f32_dpp v119, v249, v119 quad_perm:[3,3,3,3] row_mask:0xf bank_mask:0xf// 000000027F38: 0AEEEEFA FF00FFF9
	v_mul_f32_dpp v120, v250, v120 quad_perm:[0,0,0,0] row_mask:0xf bank_mask:0xf// 000000027F40: 0AF0F0FA FF0000FA
	v_mul_f32_dpp v121, v250, v121 quad_perm:[1,1,1,1] row_mask:0xf bank_mask:0xf// 000000027F48: 0AF2F2FA FF0055FA
	v_mul_f32_dpp v122, v250, v122 quad_perm:[2,2,2,2] row_mask:0xf bank_mask:0xf// 000000027F50: 0AF4F4FA FF00AAFA
	v_mul_f32_dpp v123, v250, v123 quad_perm:[3,3,3,3] row_mask:0xf bank_mask:0xf// 000000027F58: 0AF6F6FA FF00FFFA
	v_mul_f32_dpp v124, v251, v124 quad_perm:[0,0,0,0] row_mask:0xf bank_mask:0xf// 000000027F60: 0AF8F8FA FF0000FB
	v_mul_f32_dpp v125, v251, v125 quad_perm:[1,1,1,1] row_mask:0xf bank_mask:0xf// 000000027F68: 0AFAFAFA FF0055FB
	v_mul_f32_dpp v126, v251, v126 quad_perm:[2,2,2,2] row_mask:0xf bank_mask:0xf// 000000027F70: 0AFCFCFA FF00AAFB
	v_mul_f32_dpp v127, v251, v127 quad_perm:[3,3,3,3] row_mask:0xf bank_mask:0xf// 000000027F78: 0AFEFEFA FF00FFFB
	buffer_load_dwordx4 a[20:23], v24, s[16:19], 0 offen offset:1024// 000000027F80: E05C1400 80841418
	s_cmp_le_i32 s90, s89                                      // 000000027F88: BF05595A
	s_cbranch_scc1 label_97D5                                  // 000000027F8C: BF850071
	v_mov_b32_e32 v66, 0xff800000                              // 000000027F90: 7E8402FF FF800000
	s_mov_b32 s60, s90                                         // 000000027F98: BEBC005A
	s_add_u32 s61, s89, 0xff                                   // 000000027F9C: 803DFF59 000000FF
	v_mov_b32_e32 v64, s61                                     // 000000027FA4: 7E80023D
	v_lshrrev_b32_e32 v240, 4, v0                              // 000000027FA8: 21E00084
	v_mul_i32_i24_e32 v240, 4, v240                            // 000000027FAC: 0DE1E084
	v_add_u32_e32 v240, s60, v240                              // 000000027FB0: 69E1E03C
	s_mov_b32 s61, 0                                           // 000000027FB4: BEBD0080
	s_mul_i32 s60, 16, s7                                      // 000000027FB8: 923C0790
	v_sub_u32_e64 v240, v240, s61                              // 000000027FBC: D13500F0 00007BF0
	v_add_u32_e32 v240, s60, v240                              // 000000027FC4: 69E1E03C
	v_add_u32_e32 v241, 1, v240                                // 000000027FC8: 69E3E081
	v_add_u32_e32 v242, 2, v240                                // 000000027FCC: 69E5E082
	v_add_u32_e32 v243, 3, v240                                // 000000027FD0: 69E7E083
	v_cmp_le_u32_e64 s[40:41], v240, v64                       // 000000027FD4: D0CB0028 000281F0
	v_add_u32_e32 v240, 64, v240                               // 000000027FDC: 69E1E0C0
	s_nop 0                                                    // 000000027FE0: BF800000
	v_cndmask_b32_e64 v112, v66, v112, s[40:41]                // 000000027FE4: D1000070 00A2E142
	v_cmp_le_u32_e64 s[40:41], v241, v64                       // 000000027FEC: D0CB0028 000281F1
	v_add_u32_e32 v241, 64, v241                               // 000000027FF4: 69E3E2C0
	s_nop 0                                                    // 000000027FF8: BF800000
	v_cndmask_b32_e64 v113, v66, v113, s[40:41]                // 000000027FFC: D1000071 00A2E342
	v_cmp_le_u32_e64 s[40:41], v242, v64                       // 000000028004: D0CB0028 000281F2
	v_add_u32_e32 v242, 64, v242                               // 00000002800C: 69E5E4C0
	s_nop 0                                                    // 000000028010: BF800000
	v_cndmask_b32_e64 v114, v66, v114, s[40:41]                // 000000028014: D1000072 00A2E542
	v_cmp_le_u32_e64 s[40:41], v243, v64                       // 00000002801C: D0CB0028 000281F3
	v_add_u32_e32 v243, 64, v243                               // 000000028024: 69E7E6C0
	s_nop 0                                                    // 000000028028: BF800000
	v_cndmask_b32_e64 v115, v66, v115, s[40:41]                // 00000002802C: D1000073 00A2E742
	v_cmp_le_u32_e64 s[40:41], v240, v64                       // 000000028034: D0CB0028 000281F0
	v_add_u32_e32 v240, 64, v240                               // 00000002803C: 69E1E0C0
	s_nop 0                                                    // 000000028040: BF800000
	v_cndmask_b32_e64 v116, v66, v116, s[40:41]                // 000000028044: D1000074 00A2E942
	v_cmp_le_u32_e64 s[40:41], v241, v64                       // 00000002804C: D0CB0028 000281F1
	v_add_u32_e32 v241, 64, v241                               // 000000028054: 69E3E2C0
	s_nop 0                                                    // 000000028058: BF800000
	v_cndmask_b32_e64 v117, v66, v117, s[40:41]                // 00000002805C: D1000075 00A2EB42
	v_cmp_le_u32_e64 s[40:41], v242, v64                       // 000000028064: D0CB0028 000281F2
	v_add_u32_e32 v242, 64, v242                               // 00000002806C: 69E5E4C0
	s_nop 0                                                    // 000000028070: BF800000
	v_cndmask_b32_e64 v118, v66, v118, s[40:41]                // 000000028074: D1000076 00A2ED42
	v_cmp_le_u32_e64 s[40:41], v243, v64                       // 00000002807C: D0CB0028 000281F3
	v_add_u32_e32 v243, 64, v243                               // 000000028084: 69E7E6C0
	s_nop 0                                                    // 000000028088: BF800000
	v_cndmask_b32_e64 v119, v66, v119, s[40:41]                // 00000002808C: D1000077 00A2EF42
	v_cmp_le_u32_e64 s[40:41], v240, v64                       // 000000028094: D0CB0028 000281F0
	v_add_u32_e32 v240, 64, v240                               // 00000002809C: 69E1E0C0
	s_nop 0                                                    // 0000000280A0: BF800000
	v_cndmask_b32_e64 v120, v66, v120, s[40:41]                // 0000000280A4: D1000078 00A2F142
	v_cmp_le_u32_e64 s[40:41], v241, v64                       // 0000000280AC: D0CB0028 000281F1
	v_add_u32_e32 v241, 64, v241                               // 0000000280B4: 69E3E2C0
	s_nop 0                                                    // 0000000280B8: BF800000
	v_cndmask_b32_e64 v121, v66, v121, s[40:41]                // 0000000280BC: D1000079 00A2F342
	v_cmp_le_u32_e64 s[40:41], v242, v64                       // 0000000280C4: D0CB0028 000281F2
	v_add_u32_e32 v242, 64, v242                               // 0000000280CC: 69E5E4C0
	s_nop 0                                                    // 0000000280D0: BF800000
	v_cndmask_b32_e64 v122, v66, v122, s[40:41]                // 0000000280D4: D100007A 00A2F542
	v_cmp_le_u32_e64 s[40:41], v243, v64                       // 0000000280DC: D0CB0028 000281F3
	v_add_u32_e32 v243, 64, v243                               // 0000000280E4: 69E7E6C0
	s_nop 0                                                    // 0000000280E8: BF800000
	v_cndmask_b32_e64 v123, v66, v123, s[40:41]                // 0000000280EC: D100007B 00A2F742
	v_cmp_le_u32_e64 s[40:41], v240, v64                       // 0000000280F4: D0CB0028 000281F0
	v_add_u32_e32 v240, 64, v240                               // 0000000280FC: 69E1E0C0
	s_nop 0                                                    // 000000028100: BF800000
	v_cndmask_b32_e64 v124, v66, v124, s[40:41]                // 000000028104: D100007C 00A2F942
	v_cmp_le_u32_e64 s[40:41], v241, v64                       // 00000002810C: D0CB0028 000281F1
	v_add_u32_e32 v241, 64, v241                               // 000000028114: 69E3E2C0
	s_nop 0                                                    // 000000028118: BF800000
	v_cndmask_b32_e64 v125, v66, v125, s[40:41]                // 00000002811C: D100007D 00A2FB42
	v_cmp_le_u32_e64 s[40:41], v242, v64                       // 000000028124: D0CB0028 000281F2
	v_add_u32_e32 v242, 64, v242                               // 00000002812C: 69E5E4C0
	s_nop 0                                                    // 000000028130: BF800000
	v_cndmask_b32_e64 v126, v66, v126, s[40:41]                // 000000028134: D100007E 00A2FD42
	v_cmp_le_u32_e64 s[40:41], v243, v64                       // 00000002813C: D0CB0028 000281F3
	v_add_u32_e32 v243, 64, v243                               // 000000028144: 69E7E6C0
	s_nop 0                                                    // 000000028148: BF800000
	v_cndmask_b32_e64 v127, v66, v127, s[40:41]                // 00000002814C: D100007F 00A2FF42

0000000000028154 <label_97D5>:
	v_mov_b32_e32 v48, v112                                    // 000000028154: 7E600370
	v_max3_f32 v48, v112, v113, v48                            // 000000028158: D1D30030 04C2E370
	v_max3_f32 v48, v114, v115, v48                            // 000000028160: D1D30030 04C2E772
	v_max3_f32 v48, v116, v117, v48                            // 000000028168: D1D30030 04C2EB74
	v_max3_f32 v48, v118, v119, v48                            // 000000028170: D1D30030 04C2EF76
	v_max3_f32 v48, v120, v121, v48                            // 000000028178: D1D30030 04C2F378
	v_max3_f32 v48, v122, v123, v48                            // 000000028180: D1D30030 04C2F77A
	v_max3_f32 v48, v124, v125, v48                            // 000000028188: D1D30030 04C2FB7C
	v_max3_f32 v48, v126, v127, v48                            // 000000028190: D1D30030 04C2FF7E
	ds_write_b32 v8, v48 offset:16896                          // 000000028198: D81A4200 00003008
	buffer_load_dwordx4 a[24:27], v25, s[16:19], 0 offen       // 0000000281A0: E05C1000 80841819
	v_mul_u32_u24_dpp v64, v16, v54 row_newbcast:1 row_mask:0xf bank_mask:0xf// 0000000281A8: 10806CFA FF015110
	v_mul_u32_u24_dpp v65, v16, v54 row_newbcast:5 row_mask:0xf bank_mask:0xf// 0000000281B0: 10826CFA FF015510
	v_mul_u32_u24_dpp v66, v16, v54 row_newbcast:9 row_mask:0xf bank_mask:0xf// 0000000281B8: 10846CFA FF015910
	v_mul_u32_u24_dpp v67, v16, v54 row_newbcast:13 row_mask:0xf bank_mask:0xf// 0000000281C0: 10866CFA FF015D10
	v_add_u32_e32 v30, v64, v6                                 // 0000000281C8: 683C0D40
	v_add_u32_e32 v31, v65, v6                                 // 0000000281CC: 683E0D41
	v_add_u32_e32 v32, v66, v6                                 // 0000000281D0: 68400D42
	v_add_u32_e32 v33, v67, v6                                 // 0000000281D4: 68420D43
	v_mul_f32_e32 v208, v49, v208                              // 0000000281D8: 0BA1A131
	v_mul_f32_e32 v209, v49, v209                              // 0000000281DC: 0BA3A331
	v_mul_f32_e32 v210, v49, v210                              // 0000000281E0: 0BA5A531
	v_mul_f32_e32 v211, v49, v211                              // 0000000281E4: 0BA7A731
	v_mul_f32_e32 v212, v49, v212                              // 0000000281E8: 0BA9A931
	v_mul_f32_e32 v213, v49, v213                              // 0000000281EC: 0BABAB31
	v_mul_f32_e32 v214, v49, v214                              // 0000000281F0: 0BADAD31
	v_mul_f32_e32 v215, v49, v215                              // 0000000281F4: 0BAFAF31
	s_waitcnt lgkmcnt(0)                                       // 0000000281F8: BF8CC07F
	s_barrier                                                  // 0000000281FC: BF8A0000
	ds_read_b32 v64, v7 offset:16896                           // 000000028200: D86C4200 40000007
	ds_read_b32 v65, v7 offset:16960                           // 000000028208: D86C4240 41000007
	ds_read_b32 v66, v7 offset:17024                           // 000000028210: D86C4280 42000007
	ds_read_b32 v67, v7 offset:17088                           // 000000028218: D86C42C0 43000007
	ds_read_b32 v68, v7 offset:17152                           // 000000028220: D86C4300 44000007
	ds_read_b32 v69, v7 offset:17216                           // 000000028228: D86C4340 45000007
	ds_read_b32 v70, v7 offset:17280                           // 000000028230: D86C4380 46000007
	ds_read_b32 v71, v7 offset:17344                           // 000000028238: D86C43C0 47000007
	ds_read_b32 v72, v7 offset:17408                           // 000000028240: D86C4400 48000007
	ds_read_b32 v73, v7 offset:17472                           // 000000028248: D86C4440 49000007
	ds_read_b32 v74, v7 offset:17536                           // 000000028250: D86C4480 4A000007
	ds_read_b32 v75, v7 offset:17600                           // 000000028258: D86C44C0 4B000007
	ds_read_b32 v76, v7 offset:17664                           // 000000028260: D86C4500 4C000007
	ds_read_b32 v77, v7 offset:17728                           // 000000028268: D86C4540 4D000007
	ds_read_b32 v78, v7 offset:17792                           // 000000028270: D86C4580 4E000007
	ds_read_b32 v79, v7 offset:17856                           // 000000028278: D86C45C0 4F000007
	buffer_load_dwordx4 a[28:31], v25, s[16:19], 0 offen offset:1024// 000000028280: E05C1400 80841C19
	v_cvt_f32_i32_e32 v176, v176                               // 000000028288: 7F600BB0
	v_cvt_f32_i32_e32 v177, v177                               // 00000002828C: 7F620BB1
	v_cvt_f32_i32_e32 v178, v178                               // 000000028290: 7F640BB2
	v_cvt_f32_i32_e32 v179, v179                               // 000000028294: 7F660BB3
	v_cvt_f32_i32_e32 v180, v180                               // 000000028298: 7F680BB4
	v_cvt_f32_i32_e32 v181, v181                               // 00000002829C: 7F6A0BB5
	v_cvt_f32_i32_e32 v182, v182                               // 0000000282A0: 7F6C0BB6
	v_cvt_f32_i32_e32 v183, v183                               // 0000000282A4: 7F6E0BB7
	v_mul_f32_e32 v176, v44, v176                              // 0000000282A8: 0B61612C
	v_mul_f32_e32 v177, v44, v177                              // 0000000282AC: 0B63632C
	v_mul_f32_e32 v178, v44, v178                              // 0000000282B0: 0B65652C
	v_mul_f32_e32 v179, v44, v179                              // 0000000282B4: 0B67672C
	v_mul_f32_e32 v180, v44, v180                              // 0000000282B8: 0B69692C
	v_mul_f32_e32 v181, v44, v181                              // 0000000282BC: 0B6B6B2C
	v_mul_f32_e32 v182, v44, v182                              // 0000000282C0: 0B6D6D2C
	v_mul_f32_e32 v183, v44, v183                              // 0000000282C4: 0B6F6F2C
	s_waitcnt lgkmcnt(0)                                       // 0000000282C8: BF8CC07F
	v_max3_f32 v48, v64, v65, v48                              // 0000000282CC: D1D30030 04C28340
	v_max3_f32 v48, v66, v67, v48                              // 0000000282D4: D1D30030 04C28742
	v_max3_f32 v48, v68, v69, v48                              // 0000000282DC: D1D30030 04C28B44
	v_max3_f32 v48, v70, v71, v48                              // 0000000282E4: D1D30030 04C28F46
	v_max3_f32 v48, v72, v73, v48                              // 0000000282EC: D1D30030 04C29348
	v_max3_f32 v48, v74, v75, v48                              // 0000000282F4: D1D30030 04C2974A
	v_max3_f32 v48, v76, v77, v48                              // 0000000282FC: D1D30030 04C29B4C
	v_max3_f32 v48, v78, v79, v48                              // 000000028304: D1D30030 04C29F4E
	buffer_load_dwordx4 a[64:67], v30, s[20:23], 0 offen       // 00000002830C: E05C1000 8085401E
	v_mov_b32_e32 v64, 0xff800000                              // 000000028314: 7E8002FF FF800000
	v_cmp_eq_u32_e64 s[40:41], v64, v11                        // 00000002831C: D0CA0028 00021740
	s_nop 1                                                    // 000000028324: BF800001
	v_max_f32_e32 v15, v48, v11                                // 000000028328: 161E1730
	v_mul_f32_e32 v53, s64, v15                                // 00000002832C: 0A6A1E40
	v_fma_f32 v112, v112, s64, -v53                            // 000000028330: D1CB0070 84D48170
	v_fma_f32 v113, v113, s64, -v53                            // 000000028338: D1CB0071 84D48171
	v_fma_f32 v114, v114, s64, -v53                            // 000000028340: D1CB0072 84D48172
	v_fma_f32 v115, v115, s64, -v53                            // 000000028348: D1CB0073 84D48173
	v_fma_f32 v116, v116, s64, -v53                            // 000000028350: D1CB0074 84D48174
	v_fma_f32 v117, v117, s64, -v53                            // 000000028358: D1CB0075 84D48175
	v_fma_f32 v118, v118, s64, -v53                            // 000000028360: D1CB0076 84D48176
	v_fma_f32 v119, v119, s64, -v53                            // 000000028368: D1CB0077 84D48177
	v_fma_f32 v120, v120, s64, -v53                            // 000000028370: D1CB0078 84D48178
	v_fma_f32 v121, v121, s64, -v53                            // 000000028378: D1CB0079 84D48179
	v_fma_f32 v122, v122, s64, -v53                            // 000000028380: D1CB007A 84D4817A
	v_fma_f32 v123, v123, s64, -v53                            // 000000028388: D1CB007B 84D4817B
	v_fma_f32 v124, v124, s64, -v53                            // 000000028390: D1CB007C 84D4817C
	v_fma_f32 v125, v125, s64, -v53                            // 000000028398: D1CB007D 84D4817D
	v_fma_f32 v126, v126, s64, -v53                            // 0000000283A0: D1CB007E 84D4817E
	v_fma_f32 v127, v127, s64, -v53                            // 0000000283A8: D1CB007F 84D4817F
	buffer_load_dwordx4 a[68:71], v31, s[20:23], 0 offen       // 0000000283B0: E05C1000 8085441F
	v_exp_f32_e32 v112, v112                                   // 0000000283B8: 7EE04170
	v_exp_f32_e32 v113, v113                                   // 0000000283BC: 7EE24171
	v_exp_f32_e32 v114, v114                                   // 0000000283C0: 7EE44172
	v_exp_f32_e32 v115, v115                                   // 0000000283C4: 7EE64173
	v_exp_f32_e32 v116, v116                                   // 0000000283C8: 7EE84174
	v_exp_f32_e32 v117, v117                                   // 0000000283CC: 7EEA4175
	v_exp_f32_e32 v118, v118                                   // 0000000283D0: 7EEC4176
	v_exp_f32_e32 v119, v119                                   // 0000000283D4: 7EEE4177
	v_exp_f32_e32 v120, v120                                   // 0000000283D8: 7EF04178
	v_exp_f32_e32 v121, v121                                   // 0000000283DC: 7EF24179
	v_exp_f32_e32 v122, v122                                   // 0000000283E0: 7EF4417A
	v_exp_f32_e32 v123, v123                                   // 0000000283E4: 7EF6417B
	v_exp_f32_e32 v124, v124                                   // 0000000283E8: 7EF8417C
	v_exp_f32_e32 v125, v125                                   // 0000000283EC: 7EFA417D
	v_exp_f32_e32 v126, v126                                   // 0000000283F0: 7EFC417E
	v_exp_f32_e32 v127, v127                                   // 0000000283F4: 7EFE417F
	buffer_load_dwordx4 a[72:75], v32, s[20:23], 0 offen       // 0000000283F8: E05C1000 80854820
	v_mul_f32_dpp v240, v252, v112 quad_perm:[0,0,0,0] row_mask:0xf bank_mask:0xf// 000000028400: 0BE0E0FA FF0000FC
	v_mul_f32_dpp v241, v252, v113 quad_perm:[1,1,1,1] row_mask:0xf bank_mask:0xf// 000000028408: 0BE2E2FA FF0055FC
	v_mul_f32_dpp v242, v252, v114 quad_perm:[2,2,2,2] row_mask:0xf bank_mask:0xf// 000000028410: 0BE4E4FA FF00AAFC
	v_mul_f32_dpp v243, v252, v115 quad_perm:[3,3,3,3] row_mask:0xf bank_mask:0xf// 000000028418: 0BE6E6FA FF00FFFC
	v_mul_f32_dpp v244, v253, v116 quad_perm:[0,0,0,0] row_mask:0xf bank_mask:0xf// 000000028420: 0BE8E8FA FF0000FD
	v_mul_f32_dpp v245, v253, v117 quad_perm:[1,1,1,1] row_mask:0xf bank_mask:0xf// 000000028428: 0BEAEAFA FF0055FD
	v_mul_f32_dpp v246, v253, v118 quad_perm:[2,2,2,2] row_mask:0xf bank_mask:0xf// 000000028430: 0BECECFA FF00AAFD
	v_mul_f32_dpp v247, v253, v119 quad_perm:[3,3,3,3] row_mask:0xf bank_mask:0xf// 000000028438: 0BEEEEFA FF00FFFD
	v_mul_f32_dpp v248, v254, v120 quad_perm:[0,0,0,0] row_mask:0xf bank_mask:0xf// 000000028440: 0BF0F0FA FF0000FE
	v_mul_f32_dpp v249, v254, v121 quad_perm:[1,1,1,1] row_mask:0xf bank_mask:0xf// 000000028448: 0BF2F2FA FF0055FE
	v_mul_f32_dpp v250, v254, v122 quad_perm:[2,2,2,2] row_mask:0xf bank_mask:0xf// 000000028450: 0BF4F4FA FF00AAFE
	v_mul_f32_dpp v251, v254, v123 quad_perm:[3,3,3,3] row_mask:0xf bank_mask:0xf// 000000028458: 0BF6F6FA FF00FFFE
	v_mul_f32_dpp v252, v255, v124 quad_perm:[0,0,0,0] row_mask:0xf bank_mask:0xf// 000000028460: 0BF8F8FA FF0000FF
	v_mul_f32_dpp v253, v255, v125 quad_perm:[1,1,1,1] row_mask:0xf bank_mask:0xf// 000000028468: 0BFAFAFA FF0055FF
	v_mul_f32_dpp v254, v255, v126 quad_perm:[2,2,2,2] row_mask:0xf bank_mask:0xf// 000000028470: 0BFCFCFA FF00AAFF
	v_mul_f32_dpp v255, v255, v127 quad_perm:[3,3,3,3] row_mask:0xf bank_mask:0xf// 000000028478: 0BFEFEFA FF00FFFF
	v_mov_b32_e32 v48, 0x358637bd                              // 000000028480: 7E6002FF 358637BD
	v_max3_f32 v48, |v240|, |v241|, v48                        // 000000028488: D1D30330 04C3E3F0
	v_max3_f32 v48, |v242|, |v243|, v48                        // 000000028490: D1D30330 04C3E7F2
	v_max3_f32 v48, |v244|, |v245|, v48                        // 000000028498: D1D30330 04C3EBF4
	v_max3_f32 v48, |v246|, |v247|, v48                        // 0000000284A0: D1D30330 04C3EFF6
	v_max3_f32 v48, |v248|, |v249|, v48                        // 0000000284A8: D1D30330 04C3F3F8
	v_max3_f32 v48, |v250|, |v251|, v48                        // 0000000284B0: D1D30330 04C3F7FA
	v_max3_f32 v48, |v252|, |v253|, v48                        // 0000000284B8: D1D30330 04C3FBFC
	v_max3_f32 v48, |v254|, |v255|, v48                        // 0000000284C0: D1D30330 04C3FFFE
	buffer_load_dwordx4 a[76:79], v33, s[20:23], 0 offen       // 0000000284C8: E05C1000 80854C21
	ds_write_b32 v8, v48 offset:20992                          // 0000000284D0: D81A5200 00003008
	v_sub_f32_e32 v49, v11, v15                                // 0000000284D8: 04621F0B
	v_cndmask_b32_e64 v49, v49, 0, s[40:41]                    // 0000000284DC: D1000031 00A10131
	v_mov_b32_e32 v11, v15                                     // 0000000284E4: 7E16030F
	v_mul_f32_e32 v49, s64, v49                                // 0000000284E8: 0A626240
	v_exp_f32_e32 v49, v49                                     // 0000000284EC: 7E624131
	s_waitcnt lgkmcnt(0)                                       // 0000000284F0: BF8CC07F
	s_barrier                                                  // 0000000284F4: BF8A0000
	ds_read_b32 v64, v7 offset:20992                           // 0000000284F8: D86C5200 40000007
	ds_read_b32 v65, v7 offset:21056                           // 000000028500: D86C5240 41000007
	ds_read_b32 v66, v7 offset:21120                           // 000000028508: D86C5280 42000007
	ds_read_b32 v67, v7 offset:21184                           // 000000028510: D86C52C0 43000007
	ds_read_b32 v68, v7 offset:21248                           // 000000028518: D86C5300 44000007
	ds_read_b32 v69, v7 offset:21312                           // 000000028520: D86C5340 45000007
	ds_read_b32 v70, v7 offset:21376                           // 000000028528: D86C5380 46000007
	ds_read_b32 v71, v7 offset:21440                           // 000000028530: D86C53C0 47000007
	ds_read_b32 v72, v7 offset:21504                           // 000000028538: D86C5400 48000007
	ds_read_b32 v73, v7 offset:21568                           // 000000028540: D86C5440 49000007
	ds_read_b32 v74, v7 offset:21632                           // 000000028548: D86C5480 4A000007
	ds_read_b32 v75, v7 offset:21696                           // 000000028550: D86C54C0 4B000007
	ds_read_b32 v76, v7 offset:21760                           // 000000028558: D86C5500 4C000007
	ds_read_b32 v77, v7 offset:21824                           // 000000028560: D86C5540 4D000007
	ds_read_b32 v78, v7 offset:21888                           // 000000028568: D86C5580 4E000007
	ds_read_b32 v79, v7 offset:21952                           // 000000028570: D86C55C0 4F000007
	v_mul_f32_e32 v38, v49, v38                                // 000000028578: 0A4C4D31
	v_mov_b32_e32 v15, v112                                    // 00000002857C: 7E1E0370
	v_add_f32_e32 v15, v113, v15                               // 000000028580: 021E1F71
	v_add_f32_e32 v15, v114, v15                               // 000000028584: 021E1F72
	v_add_f32_e32 v15, v115, v15                               // 000000028588: 021E1F73
	v_add_f32_e32 v15, v116, v15                               // 00000002858C: 021E1F74
	v_add_f32_e32 v15, v117, v15                               // 000000028590: 021E1F75
	v_add_f32_e32 v15, v118, v15                               // 000000028594: 021E1F76
	v_add_f32_e32 v15, v119, v15                               // 000000028598: 021E1F77
	v_add_f32_e32 v15, v120, v15                               // 00000002859C: 021E1F78
	v_add_f32_e32 v15, v121, v15                               // 0000000285A0: 021E1F79
	v_add_f32_e32 v15, v122, v15                               // 0000000285A4: 021E1F7A
	v_add_f32_e32 v15, v123, v15                               // 0000000285A8: 021E1F7B
	v_add_f32_e32 v15, v124, v15                               // 0000000285AC: 021E1F7C
	v_add_f32_e32 v15, v125, v15                               // 0000000285B0: 021E1F7D
	v_add_f32_e32 v15, v126, v15                               // 0000000285B4: 021E1F7E
	v_add_f32_e32 v15, v127, v15                               // 0000000285B8: 021E1F7F
	v_add_f32_e32 v38, v15, v38                                // 0000000285BC: 024C4D0F
	s_waitcnt lgkmcnt(0)                                       // 0000000285C0: BF8CC07F
	v_max3_f32 v48, |v64|, |v65|, v48                          // 0000000285C4: D1D30330 04C28340
	v_max3_f32 v48, |v66|, |v67|, v48                          // 0000000285CC: D1D30330 04C28742
	v_max3_f32 v48, |v68|, |v69|, v48                          // 0000000285D4: D1D30330 04C28B44
	v_max3_f32 v48, |v70|, |v71|, v48                          // 0000000285DC: D1D30330 04C28F46
	v_max3_f32 v48, |v72|, |v73|, v48                          // 0000000285E4: D1D30330 04C29348
	v_max3_f32 v48, |v74|, |v75|, v48                          // 0000000285EC: D1D30330 04C2974A
	v_max3_f32 v48, |v76|, |v77|, v48                          // 0000000285F4: D1D30330 04C29B4C
	v_max3_f32 v48, |v78|, |v79|, v48                          // 0000000285FC: D1D30330 04C29F4E
	s_nop 2                                                    // 000000028604: BF800002
	v_rcp_f32_e32 v48, v48                                     // 000000028608: 7E604530
	s_nop 1                                                    // 00000002860C: BF800001
	v_mul_f32_e32 v48, 0x42fe0000, v48                         // 000000028610: 0A6060FF 42FE0000
	v_mul_f32_e32 v112, v48, v240                              // 000000028618: 0AE1E130
	v_mul_f32_e32 v113, v48, v241                              // 00000002861C: 0AE3E330
	v_mul_f32_e32 v114, v48, v242                              // 000000028620: 0AE5E530
	v_mul_f32_e32 v115, v48, v243                              // 000000028624: 0AE7E730
	v_mul_f32_e32 v116, v48, v244                              // 000000028628: 0AE9E930
	v_mul_f32_e32 v117, v48, v245                              // 00000002862C: 0AEBEB30
	v_mul_f32_e32 v118, v48, v246                              // 000000028630: 0AEDED30
	v_mul_f32_e32 v119, v48, v247                              // 000000028634: 0AEFEF30
	v_mul_f32_e32 v120, v48, v248                              // 000000028638: 0AF1F130
	v_mul_f32_e32 v121, v48, v249                              // 00000002863C: 0AF3F330
	v_mul_f32_e32 v122, v48, v250                              // 000000028640: 0AF5F530
	v_mul_f32_e32 v123, v48, v251                              // 000000028644: 0AF7F730
	v_mul_f32_e32 v124, v48, v252                              // 000000028648: 0AF9F930
	v_mul_f32_e32 v125, v48, v253                              // 00000002864C: 0AFBFB30
	v_mul_f32_e32 v126, v48, v254                              // 000000028650: 0AFDFD30
	v_mul_f32_e32 v127, v48, v255                              // 000000028654: 0AFFFF30
	v_cvt_i32_f32_e32 v112, v112                               // 000000028658: 7EE01170
	v_cvt_i32_f32_e32 v113, v113                               // 00000002865C: 7EE21171
	v_cvt_i32_f32_e32 v114, v114                               // 000000028660: 7EE41172
	v_cvt_i32_f32_e32 v115, v115                               // 000000028664: 7EE61173
	v_cvt_i32_f32_e32 v116, v116                               // 000000028668: 7EE81174
	v_cvt_i32_f32_e32 v117, v117                               // 00000002866C: 7EEA1175
	v_cvt_i32_f32_e32 v118, v118                               // 000000028670: 7EEC1176
	v_cvt_i32_f32_e32 v119, v119                               // 000000028674: 7EEE1177
	v_cvt_i32_f32_e32 v120, v120                               // 000000028678: 7EF01178
	v_cvt_i32_f32_e32 v121, v121                               // 00000002867C: 7EF21179
	v_cvt_i32_f32_e32 v122, v122                               // 000000028680: 7EF4117A
	v_cvt_i32_f32_e32 v123, v123                               // 000000028684: 7EF6117B
	v_cvt_i32_f32_e32 v124, v124                               // 000000028688: 7EF8117C
	v_cvt_i32_f32_e32 v125, v125                               // 00000002868C: 7EFA117D
	v_cvt_i32_f32_e32 v126, v126                               // 000000028690: 7EFC117E
	v_cvt_i32_f32_e32 v127, v127                               // 000000028694: 7EFE117F
	v_perm_b32 v112, v113, v112, s53                           // 000000028698: D1ED0070 00D6E171
	v_perm_b32 v112, v114, v112, s54                           // 0000000286A0: D1ED0070 00DAE172
	v_perm_b32 v112, v115, v112, s55                           // 0000000286A8: D1ED0070 00DEE173
	v_perm_b32 v113, v117, v116, s53                           // 0000000286B0: D1ED0071 00D6E975
	v_perm_b32 v113, v118, v113, s54                           // 0000000286B8: D1ED0071 00DAE376
	v_perm_b32 v113, v119, v113, s55                           // 0000000286C0: D1ED0071 00DEE377
	v_perm_b32 v114, v121, v120, s53                           // 0000000286C8: D1ED0072 00D6F179
	v_perm_b32 v114, v122, v114, s54                           // 0000000286D0: D1ED0072 00DAE57A
	v_perm_b32 v114, v123, v114, s55                           // 0000000286D8: D1ED0072 00DEE57B
	v_perm_b32 v115, v125, v124, s53                           // 0000000286E0: D1ED0073 00D6F97D
	v_perm_b32 v115, v126, v115, s54                           // 0000000286E8: D1ED0073 00DAE77E
	v_perm_b32 v115, v127, v115, s55                           // 0000000286F0: D1ED0073 00DEE77F
	ds_write_b32 v10, v112 offset:25088                        // 0000000286F8: D81A6200 0000700A
	ds_write_b32 v10, v113 offset:26112                        // 000000028700: D81A6600 0000710A
	ds_write_b32 v10, v114 offset:27136                        // 000000028708: D81A6A00 0000720A
	ds_write_b32 v10, v115 offset:28160                        // 000000028710: D81A6E00 0000730A
	v_add_f32_e32 v208, v208, v176                             // 000000028718: 03A161D0
	v_add_f32_e32 v209, v209, v177                             // 00000002871C: 03A363D1
	v_add_f32_e32 v210, v210, v178                             // 000000028720: 03A565D2
	v_add_f32_e32 v211, v211, v179                             // 000000028724: 03A767D3
	v_add_f32_e32 v212, v212, v180                             // 000000028728: 03A969D4
	v_add_f32_e32 v213, v213, v181                             // 00000002872C: 03AB6BD5
	v_add_f32_e32 v214, v214, v182                             // 000000028730: 03AD6DD6
	v_add_f32_e32 v215, v215, v183                             // 000000028734: 03AF6FD7
	v_rcp_f32_e32 v44, v48                                     // 000000028738: 7E584530
	s_waitcnt lgkmcnt(0)                                       // 00000002873C: BF8CC07F
	s_barrier                                                  // 000000028740: BF8A0000
	ds_read_b64 v[112:113], v9 offset:25088                    // 000000028744: D8EC6200 70000009
	ds_read_b64 v[114:115], v9 offset:25216                    // 00000002874C: D8EC6280 72000009
	ds_read_b64 v[116:117], v9 offset:26112                    // 000000028754: D8EC6600 74000009
	ds_read_b64 v[118:119], v9 offset:26240                    // 00000002875C: D8EC6680 76000009
	ds_read_b64 v[120:121], v9 offset:27136                    // 000000028764: D8EC6A00 78000009
	ds_read_b64 v[122:123], v9 offset:27264                    // 00000002876C: D8EC6A80 7A000009
	ds_read_b64 v[124:125], v9 offset:28160                    // 000000028774: D8EC6E00 7C000009
	ds_read_b64 v[126:127], v9 offset:28288                    // 00000002877C: D8EC6E80 7E000009
	v_mov_b32_dpp v64, v43 row_shr:4 row_mask:0xf bank_mask:0xf// 000000028784: 7E8002FA FF01142B
	v_mov_b32_dpp v65, v43 row_shl:4 row_mask:0xf bank_mask:0xf// 00000002878C: 7E8202FA FF01042B
	v_cndmask_b32_e64 v248, v43, v64, s[44:45]                 // 000000028794: D10000F8 00B2812B
	v_cndmask_b32_e64 v249, v65, v43, s[44:45]                 // 00000002879C: D10000F9 00B25741
	v_mov_b32_dpp v64, v248 row_shr:8 row_mask:0xf bank_mask:0xf// 0000000287A4: 7E8002FA FF0118F8
	v_mov_b32_dpp v65, v248 row_shl:8 row_mask:0xf bank_mask:0xf// 0000000287AC: 7E8202FA FF0108F8
	v_mov_b32_dpp v66, v249 row_shr:8 row_mask:0xf bank_mask:0xf// 0000000287B4: 7E8402FA FF0118F9
	v_mov_b32_dpp v67, v249 row_shl:8 row_mask:0xf bank_mask:0xf// 0000000287BC: 7E8602FA FF0108F9
	v_mov_b32_e32 v68, v248                                    // 0000000287C4: 7E8803F8
	v_mov_b32_e32 v69, v249                                    // 0000000287C8: 7E8A03F9
	v_cndmask_b32_e64 v248, v68, v64, s[42:43]                 // 0000000287CC: D10000F8 00AA8144
	v_cndmask_b32_e64 v250, v68, v65, s[78:79]                 // 0000000287D4: D10000FA 013A8344
	v_cndmask_b32_e64 v249, v69, v66, s[42:43]                 // 0000000287DC: D10000F9 00AA8545
	v_cndmask_b32_e64 v251, v69, v67, s[78:79]                 // 0000000287E4: D10000FB 013A8745
	v_mov_b32_dpp v64, v58 row_shr:4 row_mask:0xf bank_mask:0xf// 0000000287EC: 7E8002FA FF01143A
	v_mov_b32_dpp v65, v58 row_shl:4 row_mask:0xf bank_mask:0xf// 0000000287F4: 7E8202FA FF01043A
	v_cndmask_b32_e64 v252, v58, v64, s[44:45]                 // 0000000287FC: D10000FC 00B2813A
	v_cndmask_b32_e64 v253, v65, v58, s[44:45]                 // 000000028804: D10000FD 00B27541
	v_mov_b32_dpp v64, v252 row_shr:8 row_mask:0xf bank_mask:0xf// 00000002880C: 7E8002FA FF0118FC
	v_mov_b32_dpp v65, v252 row_shl:8 row_mask:0xf bank_mask:0xf// 000000028814: 7E8202FA FF0108FC
	v_mov_b32_dpp v66, v253 row_shr:8 row_mask:0xf bank_mask:0xf// 00000002881C: 7E8402FA FF0118FD
	v_mov_b32_dpp v67, v253 row_shl:8 row_mask:0xf bank_mask:0xf// 000000028824: 7E8602FA FF0108FD
	v_mov_b32_e32 v68, v252                                    // 00000002882C: 7E8803FC
	v_mov_b32_e32 v69, v253                                    // 000000028830: 7E8A03FD
	v_cndmask_b32_e64 v252, v68, v64, s[42:43]                 // 000000028834: D10000FC 00AA8144
	v_cndmask_b32_e64 v254, v68, v65, s[78:79]                 // 00000002883C: D10000FE 013A8344
	v_cndmask_b32_e64 v253, v69, v66, s[42:43]                 // 000000028844: D10000FD 00AA8545
	v_cndmask_b32_e64 v255, v69, v67, s[78:79]                 // 00000002884C: D10000FF 013A8745
	v_cvt_f32_i32_e32 v128, v128                               // 000000028854: 7F000B80
	v_cvt_f32_i32_e32 v129, v129                               // 000000028858: 7F020B81
	v_cvt_f32_i32_e32 v130, v130                               // 00000002885C: 7F040B82
	v_cvt_f32_i32_e32 v131, v131                               // 000000028860: 7F060B83
	v_cvt_f32_i32_e32 v132, v132                               // 000000028864: 7F080B84
	v_cvt_f32_i32_e32 v133, v133                               // 000000028868: 7F0A0B85
	v_cvt_f32_i32_e32 v134, v134                               // 00000002886C: 7F0C0B86
	v_cvt_f32_i32_e32 v135, v135                               // 000000028870: 7F0E0B87
	v_cvt_f32_i32_e32 v136, v136                               // 000000028874: 7F100B88
	v_cvt_f32_i32_e32 v137, v137                               // 000000028878: 7F120B89
	v_cvt_f32_i32_e32 v138, v138                               // 00000002887C: 7F140B8A
	v_cvt_f32_i32_e32 v139, v139                               // 000000028880: 7F160B8B
	v_cvt_f32_i32_e32 v140, v140                               // 000000028884: 7F180B8C
	v_cvt_f32_i32_e32 v141, v141                               // 000000028888: 7F1A0B8D
	v_cvt_f32_i32_e32 v142, v142                               // 00000002888C: 7F1C0B8E
	v_cvt_f32_i32_e32 v143, v143                               // 000000028890: 7F1E0B8F
	v_mul_f32_e32 v128, v19, v128                              // 000000028894: 0B010113
	v_mul_f32_e32 v129, v19, v129                              // 000000028898: 0B030313
	v_mul_f32_e32 v130, v19, v130                              // 00000002889C: 0B050513
	v_mul_f32_e32 v131, v19, v131                              // 0000000288A0: 0B070713
	v_mul_f32_e32 v132, v19, v132                              // 0000000288A4: 0B090913
	v_mul_f32_e32 v133, v19, v133                              // 0000000288A8: 0B0B0B13
	v_mul_f32_e32 v134, v19, v134                              // 0000000288AC: 0B0D0D13
	v_mul_f32_e32 v135, v19, v135                              // 0000000288B0: 0B0F0F13
	v_mul_f32_e32 v136, v19, v136                              // 0000000288B4: 0B111113
	v_mul_f32_e32 v137, v19, v137                              // 0000000288B8: 0B131313
	v_mul_f32_e32 v138, v19, v138                              // 0000000288BC: 0B151513
	v_mul_f32_e32 v139, v19, v139                              // 0000000288C0: 0B171713
	v_mul_f32_e32 v140, v19, v140                              // 0000000288C4: 0B191913
	v_mul_f32_e32 v141, v19, v141                              // 0000000288C8: 0B1B1B13
	v_mul_f32_e32 v142, v19, v142                              // 0000000288CC: 0B1D1D13
	v_mul_f32_e32 v143, v19, v143                              // 0000000288D0: 0B1F1F13
	v_mul_f32_dpp v128, v248, v128 quad_perm:[0,0,0,0] row_mask:0xf bank_mask:0xf// 0000000288D4: 0B0100FA FF0000F8
	v_mul_f32_dpp v129, v248, v129 quad_perm:[1,1,1,1] row_mask:0xf bank_mask:0xf// 0000000288DC: 0B0302FA FF0055F8
	v_mul_f32_dpp v130, v248, v130 quad_perm:[2,2,2,2] row_mask:0xf bank_mask:0xf// 0000000288E4: 0B0504FA FF00AAF8
	v_mul_f32_dpp v131, v248, v131 quad_perm:[3,3,3,3] row_mask:0xf bank_mask:0xf// 0000000288EC: 0B0706FA FF00FFF8
	v_mul_f32_dpp v132, v249, v132 quad_perm:[0,0,0,0] row_mask:0xf bank_mask:0xf// 0000000288F4: 0B0908FA FF0000F9
	v_mul_f32_dpp v133, v249, v133 quad_perm:[1,1,1,1] row_mask:0xf bank_mask:0xf// 0000000288FC: 0B0B0AFA FF0055F9
	v_mul_f32_dpp v134, v249, v134 quad_perm:[2,2,2,2] row_mask:0xf bank_mask:0xf// 000000028904: 0B0D0CFA FF00AAF9
	v_mul_f32_dpp v135, v249, v135 quad_perm:[3,3,3,3] row_mask:0xf bank_mask:0xf// 00000002890C: 0B0F0EFA FF00FFF9
	v_mul_f32_dpp v136, v250, v136 quad_perm:[0,0,0,0] row_mask:0xf bank_mask:0xf// 000000028914: 0B1110FA FF0000FA
	v_mul_f32_dpp v137, v250, v137 quad_perm:[1,1,1,1] row_mask:0xf bank_mask:0xf// 00000002891C: 0B1312FA FF0055FA
	v_mul_f32_dpp v138, v250, v138 quad_perm:[2,2,2,2] row_mask:0xf bank_mask:0xf// 000000028924: 0B1514FA FF00AAFA
	v_mul_f32_dpp v139, v250, v139 quad_perm:[3,3,3,3] row_mask:0xf bank_mask:0xf// 00000002892C: 0B1716FA FF00FFFA
	v_mul_f32_dpp v140, v251, v140 quad_perm:[0,0,0,0] row_mask:0xf bank_mask:0xf// 000000028934: 0B1918FA FF0000FB
	v_mul_f32_dpp v141, v251, v141 quad_perm:[1,1,1,1] row_mask:0xf bank_mask:0xf// 00000002893C: 0B1B1AFA FF0055FB
	v_mul_f32_dpp v142, v251, v142 quad_perm:[2,2,2,2] row_mask:0xf bank_mask:0xf// 000000028944: 0B1D1CFA FF00AAFB
	v_mul_f32_dpp v143, v251, v143 quad_perm:[3,3,3,3] row_mask:0xf bank_mask:0xf// 00000002894C: 0B1F1EFA FF00FFFB
	s_cmp_le_i32 s90, s89                                      // 000000028954: BF05595A
	s_cbranch_scc1 label_9A48                                  // 000000028958: BF850071
	v_mov_b32_e32 v66, 0xff800000                              // 00000002895C: 7E8402FF FF800000
	s_mov_b32 s60, s90                                         // 000000028964: BEBC005A
	s_add_u32 s61, s89, 0xff                                   // 000000028968: 803DFF59 000000FF
	v_mov_b32_e32 v64, s61                                     // 000000028970: 7E80023D
	v_lshrrev_b32_e32 v240, 4, v0                              // 000000028974: 21E00084
	v_mul_i32_i24_e32 v240, 4, v240                            // 000000028978: 0DE1E084
	v_add_u32_e32 v240, s60, v240                              // 00000002897C: 69E1E03C
	s_mov_b32 s61, 1                                           // 000000028980: BEBD0081
	s_mul_i32 s60, 16, s7                                      // 000000028984: 923C0790
	v_sub_u32_e64 v240, v240, s61                              // 000000028988: D13500F0 00007BF0
	v_add_u32_e32 v240, s60, v240                              // 000000028990: 69E1E03C
	v_add_u32_e32 v241, 1, v240                                // 000000028994: 69E3E081
	v_add_u32_e32 v242, 2, v240                                // 000000028998: 69E5E082
	v_add_u32_e32 v243, 3, v240                                // 00000002899C: 69E7E083
	v_cmp_le_u32_e64 s[40:41], v240, v64                       // 0000000289A0: D0CB0028 000281F0
	v_add_u32_e32 v240, 64, v240                               // 0000000289A8: 69E1E0C0
	s_nop 0                                                    // 0000000289AC: BF800000
	v_cndmask_b32_e64 v128, v66, v128, s[40:41]                // 0000000289B0: D1000080 00A30142
	v_cmp_le_u32_e64 s[40:41], v241, v64                       // 0000000289B8: D0CB0028 000281F1
	v_add_u32_e32 v241, 64, v241                               // 0000000289C0: 69E3E2C0
	s_nop 0                                                    // 0000000289C4: BF800000
	v_cndmask_b32_e64 v129, v66, v129, s[40:41]                // 0000000289C8: D1000081 00A30342
	v_cmp_le_u32_e64 s[40:41], v242, v64                       // 0000000289D0: D0CB0028 000281F2
	v_add_u32_e32 v242, 64, v242                               // 0000000289D8: 69E5E4C0
	s_nop 0                                                    // 0000000289DC: BF800000
	v_cndmask_b32_e64 v130, v66, v130, s[40:41]                // 0000000289E0: D1000082 00A30542
	v_cmp_le_u32_e64 s[40:41], v243, v64                       // 0000000289E8: D0CB0028 000281F3
	v_add_u32_e32 v243, 64, v243                               // 0000000289F0: 69E7E6C0
	s_nop 0                                                    // 0000000289F4: BF800000
	v_cndmask_b32_e64 v131, v66, v131, s[40:41]                // 0000000289F8: D1000083 00A30742
	v_cmp_le_u32_e64 s[40:41], v240, v64                       // 000000028A00: D0CB0028 000281F0
	v_add_u32_e32 v240, 64, v240                               // 000000028A08: 69E1E0C0
	s_nop 0                                                    // 000000028A0C: BF800000
	v_cndmask_b32_e64 v132, v66, v132, s[40:41]                // 000000028A10: D1000084 00A30942
	v_cmp_le_u32_e64 s[40:41], v241, v64                       // 000000028A18: D0CB0028 000281F1
	v_add_u32_e32 v241, 64, v241                               // 000000028A20: 69E3E2C0
	s_nop 0                                                    // 000000028A24: BF800000
	v_cndmask_b32_e64 v133, v66, v133, s[40:41]                // 000000028A28: D1000085 00A30B42
	v_cmp_le_u32_e64 s[40:41], v242, v64                       // 000000028A30: D0CB0028 000281F2
	v_add_u32_e32 v242, 64, v242                               // 000000028A38: 69E5E4C0
	s_nop 0                                                    // 000000028A3C: BF800000
	v_cndmask_b32_e64 v134, v66, v134, s[40:41]                // 000000028A40: D1000086 00A30D42
	v_cmp_le_u32_e64 s[40:41], v243, v64                       // 000000028A48: D0CB0028 000281F3
	v_add_u32_e32 v243, 64, v243                               // 000000028A50: 69E7E6C0
	s_nop 0                                                    // 000000028A54: BF800000
	v_cndmask_b32_e64 v135, v66, v135, s[40:41]                // 000000028A58: D1000087 00A30F42
	v_cmp_le_u32_e64 s[40:41], v240, v64                       // 000000028A60: D0CB0028 000281F0
	v_add_u32_e32 v240, 64, v240                               // 000000028A68: 69E1E0C0
	s_nop 0                                                    // 000000028A6C: BF800000
	v_cndmask_b32_e64 v136, v66, v136, s[40:41]                // 000000028A70: D1000088 00A31142
	v_cmp_le_u32_e64 s[40:41], v241, v64                       // 000000028A78: D0CB0028 000281F1
	v_add_u32_e32 v241, 64, v241                               // 000000028A80: 69E3E2C0
	s_nop 0                                                    // 000000028A84: BF800000
	v_cndmask_b32_e64 v137, v66, v137, s[40:41]                // 000000028A88: D1000089 00A31342
	v_cmp_le_u32_e64 s[40:41], v242, v64                       // 000000028A90: D0CB0028 000281F2
	v_add_u32_e32 v242, 64, v242                               // 000000028A98: 69E5E4C0
	s_nop 0                                                    // 000000028A9C: BF800000
	v_cndmask_b32_e64 v138, v66, v138, s[40:41]                // 000000028AA0: D100008A 00A31542
	v_cmp_le_u32_e64 s[40:41], v243, v64                       // 000000028AA8: D0CB0028 000281F3
	v_add_u32_e32 v243, 64, v243                               // 000000028AB0: 69E7E6C0
	s_nop 0                                                    // 000000028AB4: BF800000
	v_cndmask_b32_e64 v139, v66, v139, s[40:41]                // 000000028AB8: D100008B 00A31742
	v_cmp_le_u32_e64 s[40:41], v240, v64                       // 000000028AC0: D0CB0028 000281F0
	v_add_u32_e32 v240, 64, v240                               // 000000028AC8: 69E1E0C0
	s_nop 0                                                    // 000000028ACC: BF800000
	v_cndmask_b32_e64 v140, v66, v140, s[40:41]                // 000000028AD0: D100008C 00A31942
	v_cmp_le_u32_e64 s[40:41], v241, v64                       // 000000028AD8: D0CB0028 000281F1
	v_add_u32_e32 v241, 64, v241                               // 000000028AE0: 69E3E2C0
	s_nop 0                                                    // 000000028AE4: BF800000
	v_cndmask_b32_e64 v141, v66, v141, s[40:41]                // 000000028AE8: D100008D 00A31B42
	v_cmp_le_u32_e64 s[40:41], v242, v64                       // 000000028AF0: D0CB0028 000281F2
	v_add_u32_e32 v242, 64, v242                               // 000000028AF8: 69E5E4C0
	s_nop 0                                                    // 000000028AFC: BF800000
	v_cndmask_b32_e64 v142, v66, v142, s[40:41]                // 000000028B00: D100008E 00A31D42
	v_cmp_le_u32_e64 s[40:41], v243, v64                       // 000000028B08: D0CB0028 000281F3
	v_add_u32_e32 v243, 64, v243                               // 000000028B10: 69E7E6C0
	s_nop 0                                                    // 000000028B14: BF800000
	v_cndmask_b32_e64 v143, v66, v143, s[40:41]                // 000000028B18: D100008F 00A31F42

0000000000028b20 <label_9A48>:
	v_mov_b32_e32 v48, v128                                    // 000000028B20: 7E600380
	v_max3_f32 v48, v128, v129, v48                            // 000000028B24: D1D30030 04C30380
	v_max3_f32 v48, v130, v131, v48                            // 000000028B2C: D1D30030 04C30782
	v_max3_f32 v48, v132, v133, v48                            // 000000028B34: D1D30030 04C30B84
	v_max3_f32 v48, v134, v135, v48                            // 000000028B3C: D1D30030 04C30F86
	v_max3_f32 v48, v136, v137, v48                            // 000000028B44: D1D30030 04C31388
	v_max3_f32 v48, v138, v139, v48                            // 000000028B4C: D1D30030 04C3178A
	v_max3_f32 v48, v140, v141, v48                            // 000000028B54: D1D30030 04C31B8C
	v_max3_f32 v48, v142, v143, v48                            // 000000028B5C: D1D30030 04C31F8E
	ds_write_b32 v8, v48 offset:16896                          // 000000028B64: D81A4200 00003008
	v_mul_f32_e32 v216, v50, v216                              // 000000028B6C: 0BB1B132
	v_mul_f32_e32 v217, v50, v217                              // 000000028B70: 0BB3B332
	v_mul_f32_e32 v218, v50, v218                              // 000000028B74: 0BB5B532
	v_mul_f32_e32 v219, v50, v219                              // 000000028B78: 0BB7B732
	v_mul_f32_e32 v220, v50, v220                              // 000000028B7C: 0BB9B932
	v_mul_f32_e32 v221, v50, v221                              // 000000028B80: 0BBBBB32
	v_mul_f32_e32 v222, v50, v222                              // 000000028B84: 0BBDBD32
	v_mul_f32_e32 v223, v50, v223                              // 000000028B88: 0BBFBF32
	s_waitcnt lgkmcnt(0)                                       // 000000028B8C: BF8CC07F
	s_barrier                                                  // 000000028B90: BF8A0000
	ds_read_b32 v64, v7 offset:16896                           // 000000028B94: D86C4200 40000007
	ds_read_b32 v65, v7 offset:16960                           // 000000028B9C: D86C4240 41000007
	ds_read_b32 v66, v7 offset:17024                           // 000000028BA4: D86C4280 42000007
	ds_read_b32 v67, v7 offset:17088                           // 000000028BAC: D86C42C0 43000007
	ds_read_b32 v68, v7 offset:17152                           // 000000028BB4: D86C4300 44000007
	ds_read_b32 v69, v7 offset:17216                           // 000000028BBC: D86C4340 45000007
	ds_read_b32 v70, v7 offset:17280                           // 000000028BC4: D86C4380 46000007
	ds_read_b32 v71, v7 offset:17344                           // 000000028BCC: D86C43C0 47000007
	ds_read_b32 v72, v7 offset:17408                           // 000000028BD4: D86C4400 48000007
	ds_read_b32 v73, v7 offset:17472                           // 000000028BDC: D86C4440 49000007
	ds_read_b32 v74, v7 offset:17536                           // 000000028BE4: D86C4480 4A000007
	ds_read_b32 v75, v7 offset:17600                           // 000000028BEC: D86C44C0 4B000007
	ds_read_b32 v76, v7 offset:17664                           // 000000028BF4: D86C4500 4C000007
	ds_read_b32 v77, v7 offset:17728                           // 000000028BFC: D86C4540 4D000007
	ds_read_b32 v78, v7 offset:17792                           // 000000028C04: D86C4580 4E000007
	ds_read_b32 v79, v7 offset:17856                           // 000000028C0C: D86C45C0 4F000007
	v_cvt_f32_i32_e32 v184, v184                               // 000000028C14: 7F700BB8
	v_cvt_f32_i32_e32 v185, v185                               // 000000028C18: 7F720BB9
	v_cvt_f32_i32_e32 v186, v186                               // 000000028C1C: 7F740BBA
	v_cvt_f32_i32_e32 v187, v187                               // 000000028C20: 7F760BBB
	v_cvt_f32_i32_e32 v188, v188                               // 000000028C24: 7F780BBC
	v_cvt_f32_i32_e32 v189, v189                               // 000000028C28: 7F7A0BBD
	v_cvt_f32_i32_e32 v190, v190                               // 000000028C2C: 7F7C0BBE
	v_cvt_f32_i32_e32 v191, v191                               // 000000028C30: 7F7E0BBF
	v_mul_f32_e32 v184, v45, v184                              // 000000028C34: 0B71712D
	v_mul_f32_e32 v185, v45, v185                              // 000000028C38: 0B73732D
	v_mul_f32_e32 v186, v45, v186                              // 000000028C3C: 0B75752D
	v_mul_f32_e32 v187, v45, v187                              // 000000028C40: 0B77772D
	v_mul_f32_e32 v188, v45, v188                              // 000000028C44: 0B79792D
	v_mul_f32_e32 v189, v45, v189                              // 000000028C48: 0B7B7B2D
	v_mul_f32_e32 v190, v45, v190                              // 000000028C4C: 0B7D7D2D
	v_mul_f32_e32 v191, v45, v191                              // 000000028C50: 0B7F7F2D
	s_waitcnt lgkmcnt(0)                                       // 000000028C54: BF8CC07F
	v_max3_f32 v48, v64, v65, v48                              // 000000028C58: D1D30030 04C28340
	v_max3_f32 v48, v66, v67, v48                              // 000000028C60: D1D30030 04C28742
	v_max3_f32 v48, v68, v69, v48                              // 000000028C68: D1D30030 04C28B44
	v_max3_f32 v48, v70, v71, v48                              // 000000028C70: D1D30030 04C28F46
	v_max3_f32 v48, v72, v73, v48                              // 000000028C78: D1D30030 04C29348
	v_max3_f32 v48, v74, v75, v48                              // 000000028C80: D1D30030 04C2974A
	v_max3_f32 v48, v76, v77, v48                              // 000000028C88: D1D30030 04C29B4C
	v_max3_f32 v48, v78, v79, v48                              // 000000028C90: D1D30030 04C29F4E
	v_mov_b32_e32 v64, 0xff800000                              // 000000028C98: 7E8002FF FF800000
	v_cmp_eq_u32_e64 s[40:41], v64, v12                        // 000000028CA0: D0CA0028 00021940
	s_nop 1                                                    // 000000028CA8: BF800001
	v_max_f32_e32 v15, v48, v12                                // 000000028CAC: 161E1930
	v_mul_f32_e32 v53, s64, v15                                // 000000028CB0: 0A6A1E40
	v_fma_f32 v128, v128, s64, -v53                            // 000000028CB4: D1CB0080 84D48180
	v_fma_f32 v129, v129, s64, -v53                            // 000000028CBC: D1CB0081 84D48181
	v_fma_f32 v130, v130, s64, -v53                            // 000000028CC4: D1CB0082 84D48182
	v_fma_f32 v131, v131, s64, -v53                            // 000000028CCC: D1CB0083 84D48183
	v_fma_f32 v132, v132, s64, -v53                            // 000000028CD4: D1CB0084 84D48184
	v_fma_f32 v133, v133, s64, -v53                            // 000000028CDC: D1CB0085 84D48185
	v_fma_f32 v134, v134, s64, -v53                            // 000000028CE4: D1CB0086 84D48186
	v_fma_f32 v135, v135, s64, -v53                            // 000000028CEC: D1CB0087 84D48187
	v_fma_f32 v136, v136, s64, -v53                            // 000000028CF4: D1CB0088 84D48188
	v_fma_f32 v137, v137, s64, -v53                            // 000000028CFC: D1CB0089 84D48189
	v_fma_f32 v138, v138, s64, -v53                            // 000000028D04: D1CB008A 84D4818A
	v_fma_f32 v139, v139, s64, -v53                            // 000000028D0C: D1CB008B 84D4818B
	v_fma_f32 v140, v140, s64, -v53                            // 000000028D14: D1CB008C 84D4818C
	v_fma_f32 v141, v141, s64, -v53                            // 000000028D1C: D1CB008D 84D4818D
	v_fma_f32 v142, v142, s64, -v53                            // 000000028D24: D1CB008E 84D4818E
	v_fma_f32 v143, v143, s64, -v53                            // 000000028D2C: D1CB008F 84D4818F
	v_exp_f32_e32 v128, v128                                   // 000000028D34: 7F004180
	v_exp_f32_e32 v129, v129                                   // 000000028D38: 7F024181
	v_exp_f32_e32 v130, v130                                   // 000000028D3C: 7F044182
	v_exp_f32_e32 v131, v131                                   // 000000028D40: 7F064183
	v_exp_f32_e32 v132, v132                                   // 000000028D44: 7F084184
	v_exp_f32_e32 v133, v133                                   // 000000028D48: 7F0A4185
	v_exp_f32_e32 v134, v134                                   // 000000028D4C: 7F0C4186
	v_exp_f32_e32 v135, v135                                   // 000000028D50: 7F0E4187
	v_exp_f32_e32 v136, v136                                   // 000000028D54: 7F104188
	v_exp_f32_e32 v137, v137                                   // 000000028D58: 7F124189
	v_exp_f32_e32 v138, v138                                   // 000000028D5C: 7F14418A
	v_exp_f32_e32 v139, v139                                   // 000000028D60: 7F16418B
	v_exp_f32_e32 v140, v140                                   // 000000028D64: 7F18418C
	v_exp_f32_e32 v141, v141                                   // 000000028D68: 7F1A418D
	v_exp_f32_e32 v142, v142                                   // 000000028D6C: 7F1C418E
	v_exp_f32_e32 v143, v143                                   // 000000028D70: 7F1E418F
	v_mul_f32_dpp v240, v252, v128 quad_perm:[0,0,0,0] row_mask:0xf bank_mask:0xf// 000000028D74: 0BE100FA FF0000FC
	v_mul_f32_dpp v241, v252, v129 quad_perm:[1,1,1,1] row_mask:0xf bank_mask:0xf// 000000028D7C: 0BE302FA FF0055FC
	v_mul_f32_dpp v242, v252, v130 quad_perm:[2,2,2,2] row_mask:0xf bank_mask:0xf// 000000028D84: 0BE504FA FF00AAFC
	v_mul_f32_dpp v243, v252, v131 quad_perm:[3,3,3,3] row_mask:0xf bank_mask:0xf// 000000028D8C: 0BE706FA FF00FFFC
	v_mul_f32_dpp v244, v253, v132 quad_perm:[0,0,0,0] row_mask:0xf bank_mask:0xf// 000000028D94: 0BE908FA FF0000FD
	v_mul_f32_dpp v245, v253, v133 quad_perm:[1,1,1,1] row_mask:0xf bank_mask:0xf// 000000028D9C: 0BEB0AFA FF0055FD
	v_mul_f32_dpp v246, v253, v134 quad_perm:[2,2,2,2] row_mask:0xf bank_mask:0xf// 000000028DA4: 0BED0CFA FF00AAFD
	v_mul_f32_dpp v247, v253, v135 quad_perm:[3,3,3,3] row_mask:0xf bank_mask:0xf// 000000028DAC: 0BEF0EFA FF00FFFD
	v_mul_f32_dpp v248, v254, v136 quad_perm:[0,0,0,0] row_mask:0xf bank_mask:0xf// 000000028DB4: 0BF110FA FF0000FE
	v_mul_f32_dpp v249, v254, v137 quad_perm:[1,1,1,1] row_mask:0xf bank_mask:0xf// 000000028DBC: 0BF312FA FF0055FE
	v_mul_f32_dpp v250, v254, v138 quad_perm:[2,2,2,2] row_mask:0xf bank_mask:0xf// 000000028DC4: 0BF514FA FF00AAFE
	v_mul_f32_dpp v251, v254, v139 quad_perm:[3,3,3,3] row_mask:0xf bank_mask:0xf// 000000028DCC: 0BF716FA FF00FFFE
	v_mul_f32_dpp v252, v255, v140 quad_perm:[0,0,0,0] row_mask:0xf bank_mask:0xf// 000000028DD4: 0BF918FA FF0000FF
	v_mul_f32_dpp v253, v255, v141 quad_perm:[1,1,1,1] row_mask:0xf bank_mask:0xf// 000000028DDC: 0BFB1AFA FF0055FF
	v_mul_f32_dpp v254, v255, v142 quad_perm:[2,2,2,2] row_mask:0xf bank_mask:0xf// 000000028DE4: 0BFD1CFA FF00AAFF
	v_mul_f32_dpp v255, v255, v143 quad_perm:[3,3,3,3] row_mask:0xf bank_mask:0xf// 000000028DEC: 0BFF1EFA FF00FFFF
	v_mov_b32_e32 v48, 0x358637bd                              // 000000028DF4: 7E6002FF 358637BD
	v_max3_f32 v48, |v240|, |v241|, v48                        // 000000028DFC: D1D30330 04C3E3F0
	v_max3_f32 v48, |v242|, |v243|, v48                        // 000000028E04: D1D30330 04C3E7F2
	v_max3_f32 v48, |v244|, |v245|, v48                        // 000000028E0C: D1D30330 04C3EBF4
	v_max3_f32 v48, |v246|, |v247|, v48                        // 000000028E14: D1D30330 04C3EFF6
	v_max3_f32 v48, |v248|, |v249|, v48                        // 000000028E1C: D1D30330 04C3F3F8
	v_max3_f32 v48, |v250|, |v251|, v48                        // 000000028E24: D1D30330 04C3F7FA
	v_max3_f32 v48, |v252|, |v253|, v48                        // 000000028E2C: D1D30330 04C3FBFC
	v_max3_f32 v48, |v254|, |v255|, v48                        // 000000028E34: D1D30330 04C3FFFE
	ds_write_b32 v8, v48 offset:20992                          // 000000028E3C: D81A5200 00003008
	v_sub_f32_e32 v50, v12, v15                                // 000000028E44: 04641F0C
	v_cndmask_b32_e64 v50, v50, 0, s[40:41]                    // 000000028E48: D1000032 00A10132
	v_mov_b32_e32 v12, v15                                     // 000000028E50: 7E18030F
	v_mul_f32_e32 v50, s64, v50                                // 000000028E54: 0A646440
	v_exp_f32_e32 v50, v50                                     // 000000028E58: 7E644132
	s_waitcnt lgkmcnt(0)                                       // 000000028E5C: BF8CC07F
	s_barrier                                                  // 000000028E60: BF8A0000
	ds_read_b32 v64, v7 offset:20992                           // 000000028E64: D86C5200 40000007
	ds_read_b32 v65, v7 offset:21056                           // 000000028E6C: D86C5240 41000007
	ds_read_b32 v66, v7 offset:21120                           // 000000028E74: D86C5280 42000007
	ds_read_b32 v67, v7 offset:21184                           // 000000028E7C: D86C52C0 43000007
	ds_read_b32 v68, v7 offset:21248                           // 000000028E84: D86C5300 44000007
	ds_read_b32 v69, v7 offset:21312                           // 000000028E8C: D86C5340 45000007
	ds_read_b32 v70, v7 offset:21376                           // 000000028E94: D86C5380 46000007
	ds_read_b32 v71, v7 offset:21440                           // 000000028E9C: D86C53C0 47000007
	ds_read_b32 v72, v7 offset:21504                           // 000000028EA4: D86C5400 48000007
	ds_read_b32 v73, v7 offset:21568                           // 000000028EAC: D86C5440 49000007
	ds_read_b32 v74, v7 offset:21632                           // 000000028EB4: D86C5480 4A000007
	ds_read_b32 v75, v7 offset:21696                           // 000000028EBC: D86C54C0 4B000007
	ds_read_b32 v76, v7 offset:21760                           // 000000028EC4: D86C5500 4C000007
	ds_read_b32 v77, v7 offset:21824                           // 000000028ECC: D86C5540 4D000007
	ds_read_b32 v78, v7 offset:21888                           // 000000028ED4: D86C5580 4E000007
	ds_read_b32 v79, v7 offset:21952                           // 000000028EDC: D86C55C0 4F000007
	v_mul_f32_e32 v39, v50, v39                                // 000000028EE4: 0A4E4F32
	v_mov_b32_e32 v15, v128                                    // 000000028EE8: 7E1E0380
	v_add_f32_e32 v15, v129, v15                               // 000000028EEC: 021E1F81
	v_add_f32_e32 v15, v130, v15                               // 000000028EF0: 021E1F82
	v_add_f32_e32 v15, v131, v15                               // 000000028EF4: 021E1F83
	v_add_f32_e32 v15, v132, v15                               // 000000028EF8: 021E1F84
	v_add_f32_e32 v15, v133, v15                               // 000000028EFC: 021E1F85
	v_add_f32_e32 v15, v134, v15                               // 000000028F00: 021E1F86
	v_add_f32_e32 v15, v135, v15                               // 000000028F04: 021E1F87
	v_add_f32_e32 v15, v136, v15                               // 000000028F08: 021E1F88
	v_add_f32_e32 v15, v137, v15                               // 000000028F0C: 021E1F89
	v_add_f32_e32 v15, v138, v15                               // 000000028F10: 021E1F8A
	v_add_f32_e32 v15, v139, v15                               // 000000028F14: 021E1F8B
	v_add_f32_e32 v15, v140, v15                               // 000000028F18: 021E1F8C
	v_add_f32_e32 v15, v141, v15                               // 000000028F1C: 021E1F8D
	v_add_f32_e32 v15, v142, v15                               // 000000028F20: 021E1F8E
	v_add_f32_e32 v15, v143, v15                               // 000000028F24: 021E1F8F
	v_add_f32_e32 v39, v15, v39                                // 000000028F28: 024E4F0F
	s_waitcnt lgkmcnt(0)                                       // 000000028F2C: BF8CC07F
	v_max3_f32 v48, |v64|, |v65|, v48                          // 000000028F30: D1D30330 04C28340
	v_max3_f32 v48, |v66|, |v67|, v48                          // 000000028F38: D1D30330 04C28742
	v_max3_f32 v48, |v68|, |v69|, v48                          // 000000028F40: D1D30330 04C28B44
	v_max3_f32 v48, |v70|, |v71|, v48                          // 000000028F48: D1D30330 04C28F46
	v_max3_f32 v48, |v72|, |v73|, v48                          // 000000028F50: D1D30330 04C29348
	v_max3_f32 v48, |v74|, |v75|, v48                          // 000000028F58: D1D30330 04C2974A
	v_max3_f32 v48, |v76|, |v77|, v48                          // 000000028F60: D1D30330 04C29B4C
	v_max3_f32 v48, |v78|, |v79|, v48                          // 000000028F68: D1D30330 04C29F4E
	s_nop 2                                                    // 000000028F70: BF800002
	v_rcp_f32_e32 v48, v48                                     // 000000028F74: 7E604530
	s_nop 1                                                    // 000000028F78: BF800001
	v_mul_f32_e32 v48, 0x42fe0000, v48                         // 000000028F7C: 0A6060FF 42FE0000
	v_mul_f32_e32 v128, v48, v240                              // 000000028F84: 0B01E130
	v_mul_f32_e32 v129, v48, v241                              // 000000028F88: 0B03E330
	v_mul_f32_e32 v130, v48, v242                              // 000000028F8C: 0B05E530
	v_mul_f32_e32 v131, v48, v243                              // 000000028F90: 0B07E730
	v_mul_f32_e32 v132, v48, v244                              // 000000028F94: 0B09E930
	v_mul_f32_e32 v133, v48, v245                              // 000000028F98: 0B0BEB30
	v_mul_f32_e32 v134, v48, v246                              // 000000028F9C: 0B0DED30
	v_mul_f32_e32 v135, v48, v247                              // 000000028FA0: 0B0FEF30
	v_mul_f32_e32 v136, v48, v248                              // 000000028FA4: 0B11F130
	v_mul_f32_e32 v137, v48, v249                              // 000000028FA8: 0B13F330
	v_mul_f32_e32 v138, v48, v250                              // 000000028FAC: 0B15F530
	v_mul_f32_e32 v139, v48, v251                              // 000000028FB0: 0B17F730
	v_mul_f32_e32 v140, v48, v252                              // 000000028FB4: 0B19F930
	v_mul_f32_e32 v141, v48, v253                              // 000000028FB8: 0B1BFB30
	v_mul_f32_e32 v142, v48, v254                              // 000000028FBC: 0B1DFD30
	v_mul_f32_e32 v143, v48, v255                              // 000000028FC0: 0B1FFF30
	v_cvt_i32_f32_e32 v128, v128                               // 000000028FC4: 7F001180
	v_cvt_i32_f32_e32 v129, v129                               // 000000028FC8: 7F021181
	v_cvt_i32_f32_e32 v130, v130                               // 000000028FCC: 7F041182
	v_cvt_i32_f32_e32 v131, v131                               // 000000028FD0: 7F061183
	v_cvt_i32_f32_e32 v132, v132                               // 000000028FD4: 7F081184
	v_cvt_i32_f32_e32 v133, v133                               // 000000028FD8: 7F0A1185
	v_cvt_i32_f32_e32 v134, v134                               // 000000028FDC: 7F0C1186
	v_cvt_i32_f32_e32 v135, v135                               // 000000028FE0: 7F0E1187
	v_cvt_i32_f32_e32 v136, v136                               // 000000028FE4: 7F101188
	v_cvt_i32_f32_e32 v137, v137                               // 000000028FE8: 7F121189
	v_cvt_i32_f32_e32 v138, v138                               // 000000028FEC: 7F14118A
	v_cvt_i32_f32_e32 v139, v139                               // 000000028FF0: 7F16118B
	v_cvt_i32_f32_e32 v140, v140                               // 000000028FF4: 7F18118C
	v_cvt_i32_f32_e32 v141, v141                               // 000000028FF8: 7F1A118D
	v_cvt_i32_f32_e32 v142, v142                               // 000000028FFC: 7F1C118E
	v_cvt_i32_f32_e32 v143, v143                               // 000000029000: 7F1E118F
	v_perm_b32 v128, v129, v128, s53                           // 000000029004: D1ED0080 00D70181
	v_perm_b32 v128, v130, v128, s54                           // 00000002900C: D1ED0080 00DB0182
	v_perm_b32 v128, v131, v128, s55                           // 000000029014: D1ED0080 00DF0183
	v_perm_b32 v129, v133, v132, s53                           // 00000002901C: D1ED0081 00D70985
	v_perm_b32 v129, v134, v129, s54                           // 000000029024: D1ED0081 00DB0386
	v_perm_b32 v129, v135, v129, s55                           // 00000002902C: D1ED0081 00DF0387
	v_perm_b32 v130, v137, v136, s53                           // 000000029034: D1ED0082 00D71189
	v_perm_b32 v130, v138, v130, s54                           // 00000002903C: D1ED0082 00DB058A
	v_perm_b32 v130, v139, v130, s55                           // 000000029044: D1ED0082 00DF058B
	v_perm_b32 v131, v141, v140, s53                           // 00000002904C: D1ED0083 00D7198D
	v_perm_b32 v131, v142, v131, s54                           // 000000029054: D1ED0083 00DB078E
	v_perm_b32 v131, v143, v131, s55                           // 00000002905C: D1ED0083 00DF078F
	ds_write_b32 v10, v128 offset:29184                        // 000000029064: D81A7200 0000800A
	ds_write_b32 v10, v129 offset:30208                        // 00000002906C: D81A7600 0000810A
	ds_write_b32 v10, v130 offset:31232                        // 000000029074: D81A7A00 0000820A
	ds_write_b32 v10, v131 offset:32256                        // 00000002907C: D81A7E00 0000830A
	v_add_f32_e32 v216, v216, v184                             // 000000029084: 03B171D8
	v_add_f32_e32 v217, v217, v185                             // 000000029088: 03B373D9
	v_add_f32_e32 v218, v218, v186                             // 00000002908C: 03B575DA
	v_add_f32_e32 v219, v219, v187                             // 000000029090: 03B777DB
	v_add_f32_e32 v220, v220, v188                             // 000000029094: 03B979DC
	v_add_f32_e32 v221, v221, v189                             // 000000029098: 03BB7BDD
	v_add_f32_e32 v222, v222, v190                             // 00000002909C: 03BD7DDE
	v_add_f32_e32 v223, v223, v191                             // 0000000290A0: 03BF7FDF
	v_rcp_f32_e32 v45, v48                                     // 0000000290A4: 7E5A4530
	s_waitcnt lgkmcnt(0)                                       // 0000000290A8: BF8CC07F
	s_barrier                                                  // 0000000290AC: BF8A0000
	ds_read_b64 v[128:129], v9 offset:29184                    // 0000000290B0: D8EC7200 80000009
	ds_read_b64 v[130:131], v9 offset:29312                    // 0000000290B8: D8EC7280 82000009
	ds_read_b64 v[132:133], v9 offset:30208                    // 0000000290C0: D8EC7600 84000009
	ds_read_b64 v[134:135], v9 offset:30336                    // 0000000290C8: D8EC7680 86000009
	ds_read_b64 v[136:137], v9 offset:31232                    // 0000000290D0: D8EC7A00 88000009
	ds_read_b64 v[138:139], v9 offset:31360                    // 0000000290D8: D8EC7A80 8A000009
	ds_read_b64 v[140:141], v9 offset:32256                    // 0000000290E0: D8EC7E00 8C000009
	ds_read_b64 v[142:143], v9 offset:32384                    // 0000000290E8: D8EC7E80 8E000009
	v_mov_b32_dpp v64, v43 row_shr:4 row_mask:0xf bank_mask:0xf// 0000000290F0: 7E8002FA FF01142B
	v_mov_b32_dpp v65, v43 row_shl:4 row_mask:0xf bank_mask:0xf// 0000000290F8: 7E8202FA FF01042B
	v_cndmask_b32_e64 v248, v43, v64, s[44:45]                 // 000000029100: D10000F8 00B2812B
	v_cndmask_b32_e64 v249, v65, v43, s[44:45]                 // 000000029108: D10000F9 00B25741
	v_mov_b32_dpp v64, v248 row_shr:8 row_mask:0xf bank_mask:0xf// 000000029110: 7E8002FA FF0118F8
	v_mov_b32_dpp v65, v248 row_shl:8 row_mask:0xf bank_mask:0xf// 000000029118: 7E8202FA FF0108F8
	v_mov_b32_dpp v66, v249 row_shr:8 row_mask:0xf bank_mask:0xf// 000000029120: 7E8402FA FF0118F9
	v_mov_b32_dpp v67, v249 row_shl:8 row_mask:0xf bank_mask:0xf// 000000029128: 7E8602FA FF0108F9
	v_mov_b32_e32 v68, v248                                    // 000000029130: 7E8803F8
	v_mov_b32_e32 v69, v249                                    // 000000029134: 7E8A03F9
	v_cndmask_b32_e64 v248, v68, v64, s[42:43]                 // 000000029138: D10000F8 00AA8144
	v_cndmask_b32_e64 v250, v68, v65, s[78:79]                 // 000000029140: D10000FA 013A8344
	v_cndmask_b32_e64 v249, v69, v66, s[42:43]                 // 000000029148: D10000F9 00AA8545
	v_cndmask_b32_e64 v251, v69, v67, s[78:79]                 // 000000029150: D10000FB 013A8745
	v_mov_b32_dpp v64, v58 row_shr:4 row_mask:0xf bank_mask:0xf// 000000029158: 7E8002FA FF01143A
	v_mov_b32_dpp v65, v58 row_shl:4 row_mask:0xf bank_mask:0xf// 000000029160: 7E8202FA FF01043A
	v_cndmask_b32_e64 v252, v58, v64, s[44:45]                 // 000000029168: D10000FC 00B2813A
	v_cndmask_b32_e64 v253, v65, v58, s[44:45]                 // 000000029170: D10000FD 00B27541
	v_mov_b32_dpp v64, v252 row_shr:8 row_mask:0xf bank_mask:0xf// 000000029178: 7E8002FA FF0118FC
	v_mov_b32_dpp v65, v252 row_shl:8 row_mask:0xf bank_mask:0xf// 000000029180: 7E8202FA FF0108FC
	v_mov_b32_dpp v66, v253 row_shr:8 row_mask:0xf bank_mask:0xf// 000000029188: 7E8402FA FF0118FD
	v_mov_b32_dpp v67, v253 row_shl:8 row_mask:0xf bank_mask:0xf// 000000029190: 7E8602FA FF0108FD
	v_mov_b32_e32 v68, v252                                    // 000000029198: 7E8803FC
	v_mov_b32_e32 v69, v253                                    // 00000002919C: 7E8A03FD
	v_cndmask_b32_e64 v252, v68, v64, s[42:43]                 // 0000000291A0: D10000FC 00AA8144
	v_cndmask_b32_e64 v254, v68, v65, s[78:79]                 // 0000000291A8: D10000FE 013A8344
	v_cndmask_b32_e64 v253, v69, v66, s[42:43]                 // 0000000291B0: D10000FD 00AA8545
	v_cndmask_b32_e64 v255, v69, v67, s[78:79]                 // 0000000291B8: D10000FF 013A8745
	v_cvt_f32_i32_e32 v144, v144                               // 0000000291C0: 7F200B90
	v_cvt_f32_i32_e32 v145, v145                               // 0000000291C4: 7F220B91
	v_cvt_f32_i32_e32 v146, v146                               // 0000000291C8: 7F240B92
	v_cvt_f32_i32_e32 v147, v147                               // 0000000291CC: 7F260B93
	v_cvt_f32_i32_e32 v148, v148                               // 0000000291D0: 7F280B94
	v_cvt_f32_i32_e32 v149, v149                               // 0000000291D4: 7F2A0B95
	v_cvt_f32_i32_e32 v150, v150                               // 0000000291D8: 7F2C0B96
	v_cvt_f32_i32_e32 v151, v151                               // 0000000291DC: 7F2E0B97
	v_cvt_f32_i32_e32 v152, v152                               // 0000000291E0: 7F300B98
	v_cvt_f32_i32_e32 v153, v153                               // 0000000291E4: 7F320B99
	v_cvt_f32_i32_e32 v154, v154                               // 0000000291E8: 7F340B9A
	v_cvt_f32_i32_e32 v155, v155                               // 0000000291EC: 7F360B9B
	v_cvt_f32_i32_e32 v156, v156                               // 0000000291F0: 7F380B9C
	v_cvt_f32_i32_e32 v157, v157                               // 0000000291F4: 7F3A0B9D
	v_cvt_f32_i32_e32 v158, v158                               // 0000000291F8: 7F3C0B9E
	v_cvt_f32_i32_e32 v159, v159                               // 0000000291FC: 7F3E0B9F
	v_mul_f32_e32 v144, v20, v144                              // 000000029200: 0B212114
	v_mul_f32_e32 v145, v20, v145                              // 000000029204: 0B232314
	v_mul_f32_e32 v146, v20, v146                              // 000000029208: 0B252514
	v_mul_f32_e32 v147, v20, v147                              // 00000002920C: 0B272714
	v_mul_f32_e32 v148, v20, v148                              // 000000029210: 0B292914
	v_mul_f32_e32 v149, v20, v149                              // 000000029214: 0B2B2B14
	v_mul_f32_e32 v150, v20, v150                              // 000000029218: 0B2D2D14
	v_mul_f32_e32 v151, v20, v151                              // 00000002921C: 0B2F2F14
	v_mul_f32_e32 v152, v20, v152                              // 000000029220: 0B313114
	v_mul_f32_e32 v153, v20, v153                              // 000000029224: 0B333314
	v_mul_f32_e32 v154, v20, v154                              // 000000029228: 0B353514
	v_mul_f32_e32 v155, v20, v155                              // 00000002922C: 0B373714
	v_mul_f32_e32 v156, v20, v156                              // 000000029230: 0B393914
	v_mul_f32_e32 v157, v20, v157                              // 000000029234: 0B3B3B14
	v_mul_f32_e32 v158, v20, v158                              // 000000029238: 0B3D3D14
	v_mul_f32_e32 v159, v20, v159                              // 00000002923C: 0B3F3F14
	v_mul_f32_dpp v144, v248, v144 quad_perm:[0,0,0,0] row_mask:0xf bank_mask:0xf// 000000029240: 0B2120FA FF0000F8
	v_mul_f32_dpp v145, v248, v145 quad_perm:[1,1,1,1] row_mask:0xf bank_mask:0xf// 000000029248: 0B2322FA FF0055F8
	v_mul_f32_dpp v146, v248, v146 quad_perm:[2,2,2,2] row_mask:0xf bank_mask:0xf// 000000029250: 0B2524FA FF00AAF8
	v_mul_f32_dpp v147, v248, v147 quad_perm:[3,3,3,3] row_mask:0xf bank_mask:0xf// 000000029258: 0B2726FA FF00FFF8
	v_mul_f32_dpp v148, v249, v148 quad_perm:[0,0,0,0] row_mask:0xf bank_mask:0xf// 000000029260: 0B2928FA FF0000F9
	v_mul_f32_dpp v149, v249, v149 quad_perm:[1,1,1,1] row_mask:0xf bank_mask:0xf// 000000029268: 0B2B2AFA FF0055F9
	v_mul_f32_dpp v150, v249, v150 quad_perm:[2,2,2,2] row_mask:0xf bank_mask:0xf// 000000029270: 0B2D2CFA FF00AAF9
	v_mul_f32_dpp v151, v249, v151 quad_perm:[3,3,3,3] row_mask:0xf bank_mask:0xf// 000000029278: 0B2F2EFA FF00FFF9
	v_mul_f32_dpp v152, v250, v152 quad_perm:[0,0,0,0] row_mask:0xf bank_mask:0xf// 000000029280: 0B3130FA FF0000FA
	v_mul_f32_dpp v153, v250, v153 quad_perm:[1,1,1,1] row_mask:0xf bank_mask:0xf// 000000029288: 0B3332FA FF0055FA
	v_mul_f32_dpp v154, v250, v154 quad_perm:[2,2,2,2] row_mask:0xf bank_mask:0xf// 000000029290: 0B3534FA FF00AAFA
	v_mul_f32_dpp v155, v250, v155 quad_perm:[3,3,3,3] row_mask:0xf bank_mask:0xf// 000000029298: 0B3736FA FF00FFFA
	v_mul_f32_dpp v156, v251, v156 quad_perm:[0,0,0,0] row_mask:0xf bank_mask:0xf// 0000000292A0: 0B3938FA FF0000FB
	v_mul_f32_dpp v157, v251, v157 quad_perm:[1,1,1,1] row_mask:0xf bank_mask:0xf// 0000000292A8: 0B3B3AFA FF0055FB
	v_mul_f32_dpp v158, v251, v158 quad_perm:[2,2,2,2] row_mask:0xf bank_mask:0xf// 0000000292B0: 0B3D3CFA FF00AAFB
	v_mul_f32_dpp v159, v251, v159 quad_perm:[3,3,3,3] row_mask:0xf bank_mask:0xf// 0000000292B8: 0B3F3EFA FF00FFFB
	s_cmp_le_i32 s90, s89                                      // 0000000292C0: BF05595A
	s_cbranch_scc1 label_9CA3                                  // 0000000292C4: BF850071
	v_mov_b32_e32 v66, 0xff800000                              // 0000000292C8: 7E8402FF FF800000
	s_mov_b32 s60, s90                                         // 0000000292D0: BEBC005A
	s_add_u32 s61, s89, 0xff                                   // 0000000292D4: 803DFF59 000000FF
	v_mov_b32_e32 v64, s61                                     // 0000000292DC: 7E80023D
	v_lshrrev_b32_e32 v240, 4, v0                              // 0000000292E0: 21E00084
	v_mul_i32_i24_e32 v240, 4, v240                            // 0000000292E4: 0DE1E084
	v_add_u32_e32 v240, s60, v240                              // 0000000292E8: 69E1E03C
	s_mov_b32 s61, 2                                           // 0000000292EC: BEBD0082
	s_mul_i32 s60, 16, s7                                      // 0000000292F0: 923C0790
	v_sub_u32_e64 v240, v240, s61                              // 0000000292F4: D13500F0 00007BF0
	v_add_u32_e32 v240, s60, v240                              // 0000000292FC: 69E1E03C
	v_add_u32_e32 v241, 1, v240                                // 000000029300: 69E3E081
	v_add_u32_e32 v242, 2, v240                                // 000000029304: 69E5E082
	v_add_u32_e32 v243, 3, v240                                // 000000029308: 69E7E083
	v_cmp_le_u32_e64 s[40:41], v240, v64                       // 00000002930C: D0CB0028 000281F0
	v_add_u32_e32 v240, 64, v240                               // 000000029314: 69E1E0C0
	s_nop 0                                                    // 000000029318: BF800000
	v_cndmask_b32_e64 v144, v66, v144, s[40:41]                // 00000002931C: D1000090 00A32142
	v_cmp_le_u32_e64 s[40:41], v241, v64                       // 000000029324: D0CB0028 000281F1
	v_add_u32_e32 v241, 64, v241                               // 00000002932C: 69E3E2C0
	s_nop 0                                                    // 000000029330: BF800000
	v_cndmask_b32_e64 v145, v66, v145, s[40:41]                // 000000029334: D1000091 00A32342
	v_cmp_le_u32_e64 s[40:41], v242, v64                       // 00000002933C: D0CB0028 000281F2
	v_add_u32_e32 v242, 64, v242                               // 000000029344: 69E5E4C0
	s_nop 0                                                    // 000000029348: BF800000
	v_cndmask_b32_e64 v146, v66, v146, s[40:41]                // 00000002934C: D1000092 00A32542
	v_cmp_le_u32_e64 s[40:41], v243, v64                       // 000000029354: D0CB0028 000281F3
	v_add_u32_e32 v243, 64, v243                               // 00000002935C: 69E7E6C0
	s_nop 0                                                    // 000000029360: BF800000
	v_cndmask_b32_e64 v147, v66, v147, s[40:41]                // 000000029364: D1000093 00A32742
	v_cmp_le_u32_e64 s[40:41], v240, v64                       // 00000002936C: D0CB0028 000281F0
	v_add_u32_e32 v240, 64, v240                               // 000000029374: 69E1E0C0
	s_nop 0                                                    // 000000029378: BF800000
	v_cndmask_b32_e64 v148, v66, v148, s[40:41]                // 00000002937C: D1000094 00A32942
	v_cmp_le_u32_e64 s[40:41], v241, v64                       // 000000029384: D0CB0028 000281F1
	v_add_u32_e32 v241, 64, v241                               // 00000002938C: 69E3E2C0
	s_nop 0                                                    // 000000029390: BF800000
	v_cndmask_b32_e64 v149, v66, v149, s[40:41]                // 000000029394: D1000095 00A32B42
	v_cmp_le_u32_e64 s[40:41], v242, v64                       // 00000002939C: D0CB0028 000281F2
	v_add_u32_e32 v242, 64, v242                               // 0000000293A4: 69E5E4C0
	s_nop 0                                                    // 0000000293A8: BF800000
	v_cndmask_b32_e64 v150, v66, v150, s[40:41]                // 0000000293AC: D1000096 00A32D42
	v_cmp_le_u32_e64 s[40:41], v243, v64                       // 0000000293B4: D0CB0028 000281F3
	v_add_u32_e32 v243, 64, v243                               // 0000000293BC: 69E7E6C0
	s_nop 0                                                    // 0000000293C0: BF800000
	v_cndmask_b32_e64 v151, v66, v151, s[40:41]                // 0000000293C4: D1000097 00A32F42
	v_cmp_le_u32_e64 s[40:41], v240, v64                       // 0000000293CC: D0CB0028 000281F0
	v_add_u32_e32 v240, 64, v240                               // 0000000293D4: 69E1E0C0
	s_nop 0                                                    // 0000000293D8: BF800000
	v_cndmask_b32_e64 v152, v66, v152, s[40:41]                // 0000000293DC: D1000098 00A33142
	v_cmp_le_u32_e64 s[40:41], v241, v64                       // 0000000293E4: D0CB0028 000281F1
	v_add_u32_e32 v241, 64, v241                               // 0000000293EC: 69E3E2C0
	s_nop 0                                                    // 0000000293F0: BF800000
	v_cndmask_b32_e64 v153, v66, v153, s[40:41]                // 0000000293F4: D1000099 00A33342
	v_cmp_le_u32_e64 s[40:41], v242, v64                       // 0000000293FC: D0CB0028 000281F2
	v_add_u32_e32 v242, 64, v242                               // 000000029404: 69E5E4C0
	s_nop 0                                                    // 000000029408: BF800000
	v_cndmask_b32_e64 v154, v66, v154, s[40:41]                // 00000002940C: D100009A 00A33542
	v_cmp_le_u32_e64 s[40:41], v243, v64                       // 000000029414: D0CB0028 000281F3
	v_add_u32_e32 v243, 64, v243                               // 00000002941C: 69E7E6C0
	s_nop 0                                                    // 000000029420: BF800000
	v_cndmask_b32_e64 v155, v66, v155, s[40:41]                // 000000029424: D100009B 00A33742
	v_cmp_le_u32_e64 s[40:41], v240, v64                       // 00000002942C: D0CB0028 000281F0
	v_add_u32_e32 v240, 64, v240                               // 000000029434: 69E1E0C0
	s_nop 0                                                    // 000000029438: BF800000
	v_cndmask_b32_e64 v156, v66, v156, s[40:41]                // 00000002943C: D100009C 00A33942
	v_cmp_le_u32_e64 s[40:41], v241, v64                       // 000000029444: D0CB0028 000281F1
	v_add_u32_e32 v241, 64, v241                               // 00000002944C: 69E3E2C0
	s_nop 0                                                    // 000000029450: BF800000
	v_cndmask_b32_e64 v157, v66, v157, s[40:41]                // 000000029454: D100009D 00A33B42
	v_cmp_le_u32_e64 s[40:41], v242, v64                       // 00000002945C: D0CB0028 000281F2
	v_add_u32_e32 v242, 64, v242                               // 000000029464: 69E5E4C0
	s_nop 0                                                    // 000000029468: BF800000
	v_cndmask_b32_e64 v158, v66, v158, s[40:41]                // 00000002946C: D100009E 00A33D42
	v_cmp_le_u32_e64 s[40:41], v243, v64                       // 000000029474: D0CB0028 000281F3
	v_add_u32_e32 v243, 64, v243                               // 00000002947C: 69E7E6C0
	s_nop 0                                                    // 000000029480: BF800000
	v_cndmask_b32_e64 v159, v66, v159, s[40:41]                // 000000029484: D100009F 00A33F42

000000000002948c <label_9CA3>:
	v_mov_b32_e32 v48, v144                                    // 00000002948C: 7E600390
	v_max3_f32 v48, v144, v145, v48                            // 000000029490: D1D30030 04C32390
	v_max3_f32 v48, v146, v147, v48                            // 000000029498: D1D30030 04C32792
	v_max3_f32 v48, v148, v149, v48                            // 0000000294A0: D1D30030 04C32B94
	v_max3_f32 v48, v150, v151, v48                            // 0000000294A8: D1D30030 04C32F96
	v_max3_f32 v48, v152, v153, v48                            // 0000000294B0: D1D30030 04C33398
	v_max3_f32 v48, v154, v155, v48                            // 0000000294B8: D1D30030 04C3379A
	v_max3_f32 v48, v156, v157, v48                            // 0000000294C0: D1D30030 04C33B9C
	v_max3_f32 v48, v158, v159, v48                            // 0000000294C8: D1D30030 04C33F9E
	ds_write_b32 v8, v48 offset:16896                          // 0000000294D0: D81A4200 00003008
	v_mul_f32_e32 v224, v51, v224                              // 0000000294D8: 0BC1C133
	v_mul_f32_e32 v225, v51, v225                              // 0000000294DC: 0BC3C333
	v_mul_f32_e32 v226, v51, v226                              // 0000000294E0: 0BC5C533
	v_mul_f32_e32 v227, v51, v227                              // 0000000294E4: 0BC7C733
	v_mul_f32_e32 v228, v51, v228                              // 0000000294E8: 0BC9C933
	v_mul_f32_e32 v229, v51, v229                              // 0000000294EC: 0BCBCB33
	v_mul_f32_e32 v230, v51, v230                              // 0000000294F0: 0BCDCD33
	v_mul_f32_e32 v231, v51, v231                              // 0000000294F4: 0BCFCF33
	s_waitcnt lgkmcnt(0)                                       // 0000000294F8: BF8CC07F
	s_barrier                                                  // 0000000294FC: BF8A0000
	ds_read_b32 v64, v7 offset:16896                           // 000000029500: D86C4200 40000007
	ds_read_b32 v65, v7 offset:16960                           // 000000029508: D86C4240 41000007
	ds_read_b32 v66, v7 offset:17024                           // 000000029510: D86C4280 42000007
	ds_read_b32 v67, v7 offset:17088                           // 000000029518: D86C42C0 43000007
	ds_read_b32 v68, v7 offset:17152                           // 000000029520: D86C4300 44000007
	ds_read_b32 v69, v7 offset:17216                           // 000000029528: D86C4340 45000007
	ds_read_b32 v70, v7 offset:17280                           // 000000029530: D86C4380 46000007
	ds_read_b32 v71, v7 offset:17344                           // 000000029538: D86C43C0 47000007
	ds_read_b32 v72, v7 offset:17408                           // 000000029540: D86C4400 48000007
	ds_read_b32 v73, v7 offset:17472                           // 000000029548: D86C4440 49000007
	ds_read_b32 v74, v7 offset:17536                           // 000000029550: D86C4480 4A000007
	ds_read_b32 v75, v7 offset:17600                           // 000000029558: D86C44C0 4B000007
	ds_read_b32 v76, v7 offset:17664                           // 000000029560: D86C4500 4C000007
	ds_read_b32 v77, v7 offset:17728                           // 000000029568: D86C4540 4D000007
	ds_read_b32 v78, v7 offset:17792                           // 000000029570: D86C4580 4E000007
	ds_read_b32 v79, v7 offset:17856                           // 000000029578: D86C45C0 4F000007
	v_cvt_f32_i32_e32 v192, v192                               // 000000029580: 7F800BC0
	v_cvt_f32_i32_e32 v193, v193                               // 000000029584: 7F820BC1
	v_cvt_f32_i32_e32 v194, v194                               // 000000029588: 7F840BC2
	v_cvt_f32_i32_e32 v195, v195                               // 00000002958C: 7F860BC3
	v_cvt_f32_i32_e32 v196, v196                               // 000000029590: 7F880BC4
	v_cvt_f32_i32_e32 v197, v197                               // 000000029594: 7F8A0BC5
	v_cvt_f32_i32_e32 v198, v198                               // 000000029598: 7F8C0BC6
	v_cvt_f32_i32_e32 v199, v199                               // 00000002959C: 7F8E0BC7
	v_mul_f32_e32 v192, v46, v192                              // 0000000295A0: 0B81812E
	v_mul_f32_e32 v193, v46, v193                              // 0000000295A4: 0B83832E
	v_mul_f32_e32 v194, v46, v194                              // 0000000295A8: 0B85852E
	v_mul_f32_e32 v195, v46, v195                              // 0000000295AC: 0B87872E
	v_mul_f32_e32 v196, v46, v196                              // 0000000295B0: 0B89892E
	v_mul_f32_e32 v197, v46, v197                              // 0000000295B4: 0B8B8B2E
	v_mul_f32_e32 v198, v46, v198                              // 0000000295B8: 0B8D8D2E
	v_mul_f32_e32 v199, v46, v199                              // 0000000295BC: 0B8F8F2E
	s_waitcnt lgkmcnt(0)                                       // 0000000295C0: BF8CC07F
	v_max3_f32 v48, v64, v65, v48                              // 0000000295C4: D1D30030 04C28340
	v_max3_f32 v48, v66, v67, v48                              // 0000000295CC: D1D30030 04C28742
	v_max3_f32 v48, v68, v69, v48                              // 0000000295D4: D1D30030 04C28B44
	v_max3_f32 v48, v70, v71, v48                              // 0000000295DC: D1D30030 04C28F46
	v_max3_f32 v48, v72, v73, v48                              // 0000000295E4: D1D30030 04C29348
	v_max3_f32 v48, v74, v75, v48                              // 0000000295EC: D1D30030 04C2974A
	v_max3_f32 v48, v76, v77, v48                              // 0000000295F4: D1D30030 04C29B4C
	v_max3_f32 v48, v78, v79, v48                              // 0000000295FC: D1D30030 04C29F4E
	v_mov_b32_e32 v64, 0xff800000                              // 000000029604: 7E8002FF FF800000
	v_cmp_eq_u32_e64 s[40:41], v64, v13                        // 00000002960C: D0CA0028 00021B40
	s_nop 1                                                    // 000000029614: BF800001
	v_max_f32_e32 v15, v48, v13                                // 000000029618: 161E1B30
	v_mul_f32_e32 v53, s64, v15                                // 00000002961C: 0A6A1E40
	v_fma_f32 v144, v144, s64, -v53                            // 000000029620: D1CB0090 84D48190
	v_fma_f32 v145, v145, s64, -v53                            // 000000029628: D1CB0091 84D48191
	v_fma_f32 v146, v146, s64, -v53                            // 000000029630: D1CB0092 84D48192
	v_fma_f32 v147, v147, s64, -v53                            // 000000029638: D1CB0093 84D48193
	v_fma_f32 v148, v148, s64, -v53                            // 000000029640: D1CB0094 84D48194
	v_fma_f32 v149, v149, s64, -v53                            // 000000029648: D1CB0095 84D48195
	v_fma_f32 v150, v150, s64, -v53                            // 000000029650: D1CB0096 84D48196
	v_fma_f32 v151, v151, s64, -v53                            // 000000029658: D1CB0097 84D48197
	v_fma_f32 v152, v152, s64, -v53                            // 000000029660: D1CB0098 84D48198
	v_fma_f32 v153, v153, s64, -v53                            // 000000029668: D1CB0099 84D48199
	v_fma_f32 v154, v154, s64, -v53                            // 000000029670: D1CB009A 84D4819A
	v_fma_f32 v155, v155, s64, -v53                            // 000000029678: D1CB009B 84D4819B
	v_fma_f32 v156, v156, s64, -v53                            // 000000029680: D1CB009C 84D4819C
	v_fma_f32 v157, v157, s64, -v53                            // 000000029688: D1CB009D 84D4819D
	v_fma_f32 v158, v158, s64, -v53                            // 000000029690: D1CB009E 84D4819E
	v_fma_f32 v159, v159, s64, -v53                            // 000000029698: D1CB009F 84D4819F
	v_exp_f32_e32 v144, v144                                   // 0000000296A0: 7F204190
	v_exp_f32_e32 v145, v145                                   // 0000000296A4: 7F224191
	v_exp_f32_e32 v146, v146                                   // 0000000296A8: 7F244192
	v_exp_f32_e32 v147, v147                                   // 0000000296AC: 7F264193
	v_exp_f32_e32 v148, v148                                   // 0000000296B0: 7F284194
	v_exp_f32_e32 v149, v149                                   // 0000000296B4: 7F2A4195
	v_exp_f32_e32 v150, v150                                   // 0000000296B8: 7F2C4196
	v_exp_f32_e32 v151, v151                                   // 0000000296BC: 7F2E4197
	v_exp_f32_e32 v152, v152                                   // 0000000296C0: 7F304198
	v_exp_f32_e32 v153, v153                                   // 0000000296C4: 7F324199
	v_exp_f32_e32 v154, v154                                   // 0000000296C8: 7F34419A
	v_exp_f32_e32 v155, v155                                   // 0000000296CC: 7F36419B
	v_exp_f32_e32 v156, v156                                   // 0000000296D0: 7F38419C
	v_exp_f32_e32 v157, v157                                   // 0000000296D4: 7F3A419D
	v_exp_f32_e32 v158, v158                                   // 0000000296D8: 7F3C419E
	v_exp_f32_e32 v159, v159                                   // 0000000296DC: 7F3E419F
	v_mul_f32_dpp v240, v252, v144 quad_perm:[0,0,0,0] row_mask:0xf bank_mask:0xf// 0000000296E0: 0BE120FA FF0000FC
	v_mul_f32_dpp v241, v252, v145 quad_perm:[1,1,1,1] row_mask:0xf bank_mask:0xf// 0000000296E8: 0BE322FA FF0055FC
	v_mul_f32_dpp v242, v252, v146 quad_perm:[2,2,2,2] row_mask:0xf bank_mask:0xf// 0000000296F0: 0BE524FA FF00AAFC
	v_mul_f32_dpp v243, v252, v147 quad_perm:[3,3,3,3] row_mask:0xf bank_mask:0xf// 0000000296F8: 0BE726FA FF00FFFC
	v_mul_f32_dpp v244, v253, v148 quad_perm:[0,0,0,0] row_mask:0xf bank_mask:0xf// 000000029700: 0BE928FA FF0000FD
	v_mul_f32_dpp v245, v253, v149 quad_perm:[1,1,1,1] row_mask:0xf bank_mask:0xf// 000000029708: 0BEB2AFA FF0055FD
	v_mul_f32_dpp v246, v253, v150 quad_perm:[2,2,2,2] row_mask:0xf bank_mask:0xf// 000000029710: 0BED2CFA FF00AAFD
	v_mul_f32_dpp v247, v253, v151 quad_perm:[3,3,3,3] row_mask:0xf bank_mask:0xf// 000000029718: 0BEF2EFA FF00FFFD
	v_mul_f32_dpp v248, v254, v152 quad_perm:[0,0,0,0] row_mask:0xf bank_mask:0xf// 000000029720: 0BF130FA FF0000FE
	v_mul_f32_dpp v249, v254, v153 quad_perm:[1,1,1,1] row_mask:0xf bank_mask:0xf// 000000029728: 0BF332FA FF0055FE
	v_mul_f32_dpp v250, v254, v154 quad_perm:[2,2,2,2] row_mask:0xf bank_mask:0xf// 000000029730: 0BF534FA FF00AAFE
	v_mul_f32_dpp v251, v254, v155 quad_perm:[3,3,3,3] row_mask:0xf bank_mask:0xf// 000000029738: 0BF736FA FF00FFFE
	v_mul_f32_dpp v252, v255, v156 quad_perm:[0,0,0,0] row_mask:0xf bank_mask:0xf// 000000029740: 0BF938FA FF0000FF
	v_mul_f32_dpp v253, v255, v157 quad_perm:[1,1,1,1] row_mask:0xf bank_mask:0xf// 000000029748: 0BFB3AFA FF0055FF
	v_mul_f32_dpp v254, v255, v158 quad_perm:[2,2,2,2] row_mask:0xf bank_mask:0xf// 000000029750: 0BFD3CFA FF00AAFF
	v_mul_f32_dpp v255, v255, v159 quad_perm:[3,3,3,3] row_mask:0xf bank_mask:0xf// 000000029758: 0BFF3EFA FF00FFFF
	v_mov_b32_e32 v48, 0x358637bd                              // 000000029760: 7E6002FF 358637BD
	v_max3_f32 v48, |v240|, |v241|, v48                        // 000000029768: D1D30330 04C3E3F0
	v_max3_f32 v48, |v242|, |v243|, v48                        // 000000029770: D1D30330 04C3E7F2
	v_max3_f32 v48, |v244|, |v245|, v48                        // 000000029778: D1D30330 04C3EBF4
	v_max3_f32 v48, |v246|, |v247|, v48                        // 000000029780: D1D30330 04C3EFF6
	v_max3_f32 v48, |v248|, |v249|, v48                        // 000000029788: D1D30330 04C3F3F8
	v_max3_f32 v48, |v250|, |v251|, v48                        // 000000029790: D1D30330 04C3F7FA
	v_max3_f32 v48, |v252|, |v253|, v48                        // 000000029798: D1D30330 04C3FBFC
	v_max3_f32 v48, |v254|, |v255|, v48                        // 0000000297A0: D1D30330 04C3FFFE
	ds_write_b32 v8, v48 offset:20992                          // 0000000297A8: D81A5200 00003008
	v_sub_f32_e32 v51, v13, v15                                // 0000000297B0: 04661F0D
	v_cndmask_b32_e64 v51, v51, 0, s[40:41]                    // 0000000297B4: D1000033 00A10133
	v_mov_b32_e32 v13, v15                                     // 0000000297BC: 7E1A030F
	v_mul_f32_e32 v51, s64, v51                                // 0000000297C0: 0A666640
	v_exp_f32_e32 v51, v51                                     // 0000000297C4: 7E664133
	s_waitcnt lgkmcnt(0)                                       // 0000000297C8: BF8CC07F
	s_barrier                                                  // 0000000297CC: BF8A0000
	ds_read_b32 v64, v7 offset:20992                           // 0000000297D0: D86C5200 40000007
	ds_read_b32 v65, v7 offset:21056                           // 0000000297D8: D86C5240 41000007
	ds_read_b32 v66, v7 offset:21120                           // 0000000297E0: D86C5280 42000007
	ds_read_b32 v67, v7 offset:21184                           // 0000000297E8: D86C52C0 43000007
	ds_read_b32 v68, v7 offset:21248                           // 0000000297F0: D86C5300 44000007
	ds_read_b32 v69, v7 offset:21312                           // 0000000297F8: D86C5340 45000007
	ds_read_b32 v70, v7 offset:21376                           // 000000029800: D86C5380 46000007
	ds_read_b32 v71, v7 offset:21440                           // 000000029808: D86C53C0 47000007
	ds_read_b32 v72, v7 offset:21504                           // 000000029810: D86C5400 48000007
	ds_read_b32 v73, v7 offset:21568                           // 000000029818: D86C5440 49000007
	ds_read_b32 v74, v7 offset:21632                           // 000000029820: D86C5480 4A000007
	ds_read_b32 v75, v7 offset:21696                           // 000000029828: D86C54C0 4B000007
	ds_read_b32 v76, v7 offset:21760                           // 000000029830: D86C5500 4C000007
	ds_read_b32 v77, v7 offset:21824                           // 000000029838: D86C5540 4D000007
	ds_read_b32 v78, v7 offset:21888                           // 000000029840: D86C5580 4E000007
	ds_read_b32 v79, v7 offset:21952                           // 000000029848: D86C55C0 4F000007
	v_mul_f32_e32 v40, v51, v40                                // 000000029850: 0A505133
	v_mov_b32_e32 v15, v144                                    // 000000029854: 7E1E0390
	v_add_f32_e32 v15, v145, v15                               // 000000029858: 021E1F91
	v_add_f32_e32 v15, v146, v15                               // 00000002985C: 021E1F92
	v_add_f32_e32 v15, v147, v15                               // 000000029860: 021E1F93
	v_add_f32_e32 v15, v148, v15                               // 000000029864: 021E1F94
	v_add_f32_e32 v15, v149, v15                               // 000000029868: 021E1F95
	v_add_f32_e32 v15, v150, v15                               // 00000002986C: 021E1F96
	v_add_f32_e32 v15, v151, v15                               // 000000029870: 021E1F97
	v_add_f32_e32 v15, v152, v15                               // 000000029874: 021E1F98
	v_add_f32_e32 v15, v153, v15                               // 000000029878: 021E1F99
	v_add_f32_e32 v15, v154, v15                               // 00000002987C: 021E1F9A
	v_add_f32_e32 v15, v155, v15                               // 000000029880: 021E1F9B
	v_add_f32_e32 v15, v156, v15                               // 000000029884: 021E1F9C
	v_add_f32_e32 v15, v157, v15                               // 000000029888: 021E1F9D
	v_add_f32_e32 v15, v158, v15                               // 00000002988C: 021E1F9E
	v_add_f32_e32 v15, v159, v15                               // 000000029890: 021E1F9F
	v_add_f32_e32 v40, v15, v40                                // 000000029894: 0250510F
	s_waitcnt lgkmcnt(0)                                       // 000000029898: BF8CC07F
	v_max3_f32 v48, |v64|, |v65|, v48                          // 00000002989C: D1D30330 04C28340
	v_max3_f32 v48, |v66|, |v67|, v48                          // 0000000298A4: D1D30330 04C28742
	v_max3_f32 v48, |v68|, |v69|, v48                          // 0000000298AC: D1D30330 04C28B44
	v_max3_f32 v48, |v70|, |v71|, v48                          // 0000000298B4: D1D30330 04C28F46
	v_max3_f32 v48, |v72|, |v73|, v48                          // 0000000298BC: D1D30330 04C29348
	v_max3_f32 v48, |v74|, |v75|, v48                          // 0000000298C4: D1D30330 04C2974A
	v_max3_f32 v48, |v76|, |v77|, v48                          // 0000000298CC: D1D30330 04C29B4C
	v_max3_f32 v48, |v78|, |v79|, v48                          // 0000000298D4: D1D30330 04C29F4E
	s_nop 2                                                    // 0000000298DC: BF800002
	v_rcp_f32_e32 v48, v48                                     // 0000000298E0: 7E604530
	s_nop 1                                                    // 0000000298E4: BF800001
	v_mul_f32_e32 v48, 0x42fe0000, v48                         // 0000000298E8: 0A6060FF 42FE0000
	v_mul_f32_e32 v144, v48, v240                              // 0000000298F0: 0B21E130
	v_mul_f32_e32 v145, v48, v241                              // 0000000298F4: 0B23E330
	v_mul_f32_e32 v146, v48, v242                              // 0000000298F8: 0B25E530
	v_mul_f32_e32 v147, v48, v243                              // 0000000298FC: 0B27E730
	v_mul_f32_e32 v148, v48, v244                              // 000000029900: 0B29E930
	v_mul_f32_e32 v149, v48, v245                              // 000000029904: 0B2BEB30
	v_mul_f32_e32 v150, v48, v246                              // 000000029908: 0B2DED30
	v_mul_f32_e32 v151, v48, v247                              // 00000002990C: 0B2FEF30
	v_mul_f32_e32 v152, v48, v248                              // 000000029910: 0B31F130
	v_mul_f32_e32 v153, v48, v249                              // 000000029914: 0B33F330
	v_mul_f32_e32 v154, v48, v250                              // 000000029918: 0B35F530
	v_mul_f32_e32 v155, v48, v251                              // 00000002991C: 0B37F730
	v_mul_f32_e32 v156, v48, v252                              // 000000029920: 0B39F930
	v_mul_f32_e32 v157, v48, v253                              // 000000029924: 0B3BFB30
	v_mul_f32_e32 v158, v48, v254                              // 000000029928: 0B3DFD30
	v_mul_f32_e32 v159, v48, v255                              // 00000002992C: 0B3FFF30
	v_cvt_i32_f32_e32 v144, v144                               // 000000029930: 7F201190
	v_cvt_i32_f32_e32 v145, v145                               // 000000029934: 7F221191
	v_cvt_i32_f32_e32 v146, v146                               // 000000029938: 7F241192
	v_cvt_i32_f32_e32 v147, v147                               // 00000002993C: 7F261193
	v_cvt_i32_f32_e32 v148, v148                               // 000000029940: 7F281194
	v_cvt_i32_f32_e32 v149, v149                               // 000000029944: 7F2A1195
	v_cvt_i32_f32_e32 v150, v150                               // 000000029948: 7F2C1196
	v_cvt_i32_f32_e32 v151, v151                               // 00000002994C: 7F2E1197
	v_cvt_i32_f32_e32 v152, v152                               // 000000029950: 7F301198
	v_cvt_i32_f32_e32 v153, v153                               // 000000029954: 7F321199
	v_cvt_i32_f32_e32 v154, v154                               // 000000029958: 7F34119A
	v_cvt_i32_f32_e32 v155, v155                               // 00000002995C: 7F36119B
	v_cvt_i32_f32_e32 v156, v156                               // 000000029960: 7F38119C
	v_cvt_i32_f32_e32 v157, v157                               // 000000029964: 7F3A119D
	v_cvt_i32_f32_e32 v158, v158                               // 000000029968: 7F3C119E
	v_cvt_i32_f32_e32 v159, v159                               // 00000002996C: 7F3E119F
	v_perm_b32 v144, v145, v144, s53                           // 000000029970: D1ED0090 00D72191
	v_perm_b32 v144, v146, v144, s54                           // 000000029978: D1ED0090 00DB2192
	v_perm_b32 v144, v147, v144, s55                           // 000000029980: D1ED0090 00DF2193
	v_perm_b32 v145, v149, v148, s53                           // 000000029988: D1ED0091 00D72995
	v_perm_b32 v145, v150, v145, s54                           // 000000029990: D1ED0091 00DB2396
	v_perm_b32 v145, v151, v145, s55                           // 000000029998: D1ED0091 00DF2397
	v_perm_b32 v146, v153, v152, s53                           // 0000000299A0: D1ED0092 00D73199
	v_perm_b32 v146, v154, v146, s54                           // 0000000299A8: D1ED0092 00DB259A
	v_perm_b32 v146, v155, v146, s55                           // 0000000299B0: D1ED0092 00DF259B
	v_perm_b32 v147, v157, v156, s53                           // 0000000299B8: D1ED0093 00D7399D
	v_perm_b32 v147, v158, v147, s54                           // 0000000299C0: D1ED0093 00DB279E
	v_perm_b32 v147, v159, v147, s55                           // 0000000299C8: D1ED0093 00DF279F
	ds_write_b32 v10, v144 offset:33280                        // 0000000299D0: D81A8200 0000900A
	ds_write_b32 v10, v145 offset:34304                        // 0000000299D8: D81A8600 0000910A
	ds_write_b32 v10, v146 offset:35328                        // 0000000299E0: D81A8A00 0000920A
	ds_write_b32 v10, v147 offset:36352                        // 0000000299E8: D81A8E00 0000930A
	v_add_f32_e32 v224, v224, v192                             // 0000000299F0: 03C181E0
	v_add_f32_e32 v225, v225, v193                             // 0000000299F4: 03C383E1
	v_add_f32_e32 v226, v226, v194                             // 0000000299F8: 03C585E2
	v_add_f32_e32 v227, v227, v195                             // 0000000299FC: 03C787E3
	v_add_f32_e32 v228, v228, v196                             // 000000029A00: 03C989E4
	v_add_f32_e32 v229, v229, v197                             // 000000029A04: 03CB8BE5
	v_add_f32_e32 v230, v230, v198                             // 000000029A08: 03CD8DE6
	v_add_f32_e32 v231, v231, v199                             // 000000029A0C: 03CF8FE7
	v_rcp_f32_e32 v46, v48                                     // 000000029A10: 7E5C4530
	s_waitcnt lgkmcnt(0)                                       // 000000029A14: BF8CC07F
	s_barrier                                                  // 000000029A18: BF8A0000
	ds_read_b64 v[144:145], v9 offset:33280                    // 000000029A1C: D8EC8200 90000009
	ds_read_b64 v[146:147], v9 offset:33408                    // 000000029A24: D8EC8280 92000009
	ds_read_b64 v[148:149], v9 offset:34304                    // 000000029A2C: D8EC8600 94000009
	ds_read_b64 v[150:151], v9 offset:34432                    // 000000029A34: D8EC8680 96000009
	ds_read_b64 v[152:153], v9 offset:35328                    // 000000029A3C: D8EC8A00 98000009
	ds_read_b64 v[154:155], v9 offset:35456                    // 000000029A44: D8EC8A80 9A000009
	ds_read_b64 v[156:157], v9 offset:36352                    // 000000029A4C: D8EC8E00 9C000009
	ds_read_b64 v[158:159], v9 offset:36480                    // 000000029A54: D8EC8E80 9E000009
	v_mov_b32_dpp v64, v43 row_shr:4 row_mask:0xf bank_mask:0xf// 000000029A5C: 7E8002FA FF01142B
	v_mov_b32_dpp v65, v43 row_shl:4 row_mask:0xf bank_mask:0xf// 000000029A64: 7E8202FA FF01042B
	v_cndmask_b32_e64 v248, v43, v64, s[44:45]                 // 000000029A6C: D10000F8 00B2812B
	v_cndmask_b32_e64 v249, v65, v43, s[44:45]                 // 000000029A74: D10000F9 00B25741
	v_mov_b32_dpp v64, v248 row_shr:8 row_mask:0xf bank_mask:0xf// 000000029A7C: 7E8002FA FF0118F8
	v_mov_b32_dpp v65, v248 row_shl:8 row_mask:0xf bank_mask:0xf// 000000029A84: 7E8202FA FF0108F8
	v_mov_b32_dpp v66, v249 row_shr:8 row_mask:0xf bank_mask:0xf// 000000029A8C: 7E8402FA FF0118F9
	v_mov_b32_dpp v67, v249 row_shl:8 row_mask:0xf bank_mask:0xf// 000000029A94: 7E8602FA FF0108F9
	v_mov_b32_e32 v68, v248                                    // 000000029A9C: 7E8803F8
	v_mov_b32_e32 v69, v249                                    // 000000029AA0: 7E8A03F9
	v_cndmask_b32_e64 v248, v68, v64, s[42:43]                 // 000000029AA4: D10000F8 00AA8144
	v_cndmask_b32_e64 v250, v68, v65, s[78:79]                 // 000000029AAC: D10000FA 013A8344
	v_cndmask_b32_e64 v249, v69, v66, s[42:43]                 // 000000029AB4: D10000F9 00AA8545
	v_cndmask_b32_e64 v251, v69, v67, s[78:79]                 // 000000029ABC: D10000FB 013A8745
	v_mov_b32_dpp v64, v58 row_shr:4 row_mask:0xf bank_mask:0xf// 000000029AC4: 7E8002FA FF01143A
	v_mov_b32_dpp v65, v58 row_shl:4 row_mask:0xf bank_mask:0xf// 000000029ACC: 7E8202FA FF01043A
	v_cndmask_b32_e64 v252, v58, v64, s[44:45]                 // 000000029AD4: D10000FC 00B2813A
	v_cndmask_b32_e64 v253, v65, v58, s[44:45]                 // 000000029ADC: D10000FD 00B27541
	v_mov_b32_dpp v64, v252 row_shr:8 row_mask:0xf bank_mask:0xf// 000000029AE4: 7E8002FA FF0118FC
	v_mov_b32_dpp v65, v252 row_shl:8 row_mask:0xf bank_mask:0xf// 000000029AEC: 7E8202FA FF0108FC
	v_mov_b32_dpp v66, v253 row_shr:8 row_mask:0xf bank_mask:0xf// 000000029AF4: 7E8402FA FF0118FD
	v_mov_b32_dpp v67, v253 row_shl:8 row_mask:0xf bank_mask:0xf// 000000029AFC: 7E8602FA FF0108FD
	v_mov_b32_e32 v68, v252                                    // 000000029B04: 7E8803FC
	v_mov_b32_e32 v69, v253                                    // 000000029B08: 7E8A03FD
	v_cndmask_b32_e64 v252, v68, v64, s[42:43]                 // 000000029B0C: D10000FC 00AA8144
	v_cndmask_b32_e64 v254, v68, v65, s[78:79]                 // 000000029B14: D10000FE 013A8344
	v_cndmask_b32_e64 v253, v69, v66, s[42:43]                 // 000000029B1C: D10000FD 00AA8545
	v_cndmask_b32_e64 v255, v69, v67, s[78:79]                 // 000000029B24: D10000FF 013A8745
	v_cvt_f32_i32_e32 v160, v160                               // 000000029B2C: 7F400BA0
	v_cvt_f32_i32_e32 v161, v161                               // 000000029B30: 7F420BA1
	v_cvt_f32_i32_e32 v162, v162                               // 000000029B34: 7F440BA2
	v_cvt_f32_i32_e32 v163, v163                               // 000000029B38: 7F460BA3
	v_cvt_f32_i32_e32 v164, v164                               // 000000029B3C: 7F480BA4
	v_cvt_f32_i32_e32 v165, v165                               // 000000029B40: 7F4A0BA5
	v_cvt_f32_i32_e32 v166, v166                               // 000000029B44: 7F4C0BA6
	v_cvt_f32_i32_e32 v167, v167                               // 000000029B48: 7F4E0BA7
	v_cvt_f32_i32_e32 v168, v168                               // 000000029B4C: 7F500BA8
	v_cvt_f32_i32_e32 v169, v169                               // 000000029B50: 7F520BA9
	v_cvt_f32_i32_e32 v170, v170                               // 000000029B54: 7F540BAA
	v_cvt_f32_i32_e32 v171, v171                               // 000000029B58: 7F560BAB
	v_cvt_f32_i32_e32 v172, v172                               // 000000029B5C: 7F580BAC
	v_cvt_f32_i32_e32 v173, v173                               // 000000029B60: 7F5A0BAD
	v_cvt_f32_i32_e32 v174, v174                               // 000000029B64: 7F5C0BAE
	v_cvt_f32_i32_e32 v175, v175                               // 000000029B68: 7F5E0BAF
	v_mul_f32_e32 v160, v21, v160                              // 000000029B6C: 0B414115
	v_mul_f32_e32 v161, v21, v161                              // 000000029B70: 0B434315
	v_mul_f32_e32 v162, v21, v162                              // 000000029B74: 0B454515
	v_mul_f32_e32 v163, v21, v163                              // 000000029B78: 0B474715
	v_mul_f32_e32 v164, v21, v164                              // 000000029B7C: 0B494915
	v_mul_f32_e32 v165, v21, v165                              // 000000029B80: 0B4B4B15
	v_mul_f32_e32 v166, v21, v166                              // 000000029B84: 0B4D4D15
	v_mul_f32_e32 v167, v21, v167                              // 000000029B88: 0B4F4F15
	v_mul_f32_e32 v168, v21, v168                              // 000000029B8C: 0B515115
	v_mul_f32_e32 v169, v21, v169                              // 000000029B90: 0B535315
	v_mul_f32_e32 v170, v21, v170                              // 000000029B94: 0B555515
	v_mul_f32_e32 v171, v21, v171                              // 000000029B98: 0B575715
	v_mul_f32_e32 v172, v21, v172                              // 000000029B9C: 0B595915
	v_mul_f32_e32 v173, v21, v173                              // 000000029BA0: 0B5B5B15
	v_mul_f32_e32 v174, v21, v174                              // 000000029BA4: 0B5D5D15
	v_mul_f32_e32 v175, v21, v175                              // 000000029BA8: 0B5F5F15
	v_mul_f32_dpp v160, v248, v160 quad_perm:[0,0,0,0] row_mask:0xf bank_mask:0xf// 000000029BAC: 0B4140FA FF0000F8
	v_mul_f32_dpp v161, v248, v161 quad_perm:[1,1,1,1] row_mask:0xf bank_mask:0xf// 000000029BB4: 0B4342FA FF0055F8
	v_mul_f32_dpp v162, v248, v162 quad_perm:[2,2,2,2] row_mask:0xf bank_mask:0xf// 000000029BBC: 0B4544FA FF00AAF8
	v_mul_f32_dpp v163, v248, v163 quad_perm:[3,3,3,3] row_mask:0xf bank_mask:0xf// 000000029BC4: 0B4746FA FF00FFF8
	v_mul_f32_dpp v164, v249, v164 quad_perm:[0,0,0,0] row_mask:0xf bank_mask:0xf// 000000029BCC: 0B4948FA FF0000F9
	v_mul_f32_dpp v165, v249, v165 quad_perm:[1,1,1,1] row_mask:0xf bank_mask:0xf// 000000029BD4: 0B4B4AFA FF0055F9
	v_mul_f32_dpp v166, v249, v166 quad_perm:[2,2,2,2] row_mask:0xf bank_mask:0xf// 000000029BDC: 0B4D4CFA FF00AAF9
	v_mul_f32_dpp v167, v249, v167 quad_perm:[3,3,3,3] row_mask:0xf bank_mask:0xf// 000000029BE4: 0B4F4EFA FF00FFF9
	v_mul_f32_dpp v168, v250, v168 quad_perm:[0,0,0,0] row_mask:0xf bank_mask:0xf// 000000029BEC: 0B5150FA FF0000FA
	v_mul_f32_dpp v169, v250, v169 quad_perm:[1,1,1,1] row_mask:0xf bank_mask:0xf// 000000029BF4: 0B5352FA FF0055FA
	v_mul_f32_dpp v170, v250, v170 quad_perm:[2,2,2,2] row_mask:0xf bank_mask:0xf// 000000029BFC: 0B5554FA FF00AAFA
	v_mul_f32_dpp v171, v250, v171 quad_perm:[3,3,3,3] row_mask:0xf bank_mask:0xf// 000000029C04: 0B5756FA FF00FFFA
	v_mul_f32_dpp v172, v251, v172 quad_perm:[0,0,0,0] row_mask:0xf bank_mask:0xf// 000000029C0C: 0B5958FA FF0000FB
	v_mul_f32_dpp v173, v251, v173 quad_perm:[1,1,1,1] row_mask:0xf bank_mask:0xf// 000000029C14: 0B5B5AFA FF0055FB
	v_mul_f32_dpp v174, v251, v174 quad_perm:[2,2,2,2] row_mask:0xf bank_mask:0xf// 000000029C1C: 0B5D5CFA FF00AAFB
	v_mul_f32_dpp v175, v251, v175 quad_perm:[3,3,3,3] row_mask:0xf bank_mask:0xf// 000000029C24: 0B5F5EFA FF00FFFB
	s_cmp_le_i32 s90, s89                                      // 000000029C2C: BF05595A
	s_cbranch_scc1 label_9EFE                                  // 000000029C30: BF850071
	v_mov_b32_e32 v66, 0xff800000                              // 000000029C34: 7E8402FF FF800000
	s_mov_b32 s60, s90                                         // 000000029C3C: BEBC005A
	s_add_u32 s61, s89, 0xff                                   // 000000029C40: 803DFF59 000000FF
	v_mov_b32_e32 v64, s61                                     // 000000029C48: 7E80023D
	v_lshrrev_b32_e32 v240, 4, v0                              // 000000029C4C: 21E00084
	v_mul_i32_i24_e32 v240, 4, v240                            // 000000029C50: 0DE1E084
	v_add_u32_e32 v240, s60, v240                              // 000000029C54: 69E1E03C
	s_mov_b32 s61, 3                                           // 000000029C58: BEBD0083
	s_mul_i32 s60, 16, s7                                      // 000000029C5C: 923C0790
	v_sub_u32_e64 v240, v240, s61                              // 000000029C60: D13500F0 00007BF0
	v_add_u32_e32 v240, s60, v240                              // 000000029C68: 69E1E03C
	v_add_u32_e32 v241, 1, v240                                // 000000029C6C: 69E3E081
	v_add_u32_e32 v242, 2, v240                                // 000000029C70: 69E5E082
	v_add_u32_e32 v243, 3, v240                                // 000000029C74: 69E7E083
	v_cmp_le_u32_e64 s[40:41], v240, v64                       // 000000029C78: D0CB0028 000281F0
	v_add_u32_e32 v240, 64, v240                               // 000000029C80: 69E1E0C0
	s_nop 0                                                    // 000000029C84: BF800000
	v_cndmask_b32_e64 v160, v66, v160, s[40:41]                // 000000029C88: D10000A0 00A34142
	v_cmp_le_u32_e64 s[40:41], v241, v64                       // 000000029C90: D0CB0028 000281F1
	v_add_u32_e32 v241, 64, v241                               // 000000029C98: 69E3E2C0
	s_nop 0                                                    // 000000029C9C: BF800000
	v_cndmask_b32_e64 v161, v66, v161, s[40:41]                // 000000029CA0: D10000A1 00A34342
	v_cmp_le_u32_e64 s[40:41], v242, v64                       // 000000029CA8: D0CB0028 000281F2
	v_add_u32_e32 v242, 64, v242                               // 000000029CB0: 69E5E4C0
	s_nop 0                                                    // 000000029CB4: BF800000
	v_cndmask_b32_e64 v162, v66, v162, s[40:41]                // 000000029CB8: D10000A2 00A34542
	v_cmp_le_u32_e64 s[40:41], v243, v64                       // 000000029CC0: D0CB0028 000281F3
	v_add_u32_e32 v243, 64, v243                               // 000000029CC8: 69E7E6C0
	s_nop 0                                                    // 000000029CCC: BF800000
	v_cndmask_b32_e64 v163, v66, v163, s[40:41]                // 000000029CD0: D10000A3 00A34742
	v_cmp_le_u32_e64 s[40:41], v240, v64                       // 000000029CD8: D0CB0028 000281F0
	v_add_u32_e32 v240, 64, v240                               // 000000029CE0: 69E1E0C0
	s_nop 0                                                    // 000000029CE4: BF800000
	v_cndmask_b32_e64 v164, v66, v164, s[40:41]                // 000000029CE8: D10000A4 00A34942
	v_cmp_le_u32_e64 s[40:41], v241, v64                       // 000000029CF0: D0CB0028 000281F1
	v_add_u32_e32 v241, 64, v241                               // 000000029CF8: 69E3E2C0
	s_nop 0                                                    // 000000029CFC: BF800000
	v_cndmask_b32_e64 v165, v66, v165, s[40:41]                // 000000029D00: D10000A5 00A34B42
	v_cmp_le_u32_e64 s[40:41], v242, v64                       // 000000029D08: D0CB0028 000281F2
	v_add_u32_e32 v242, 64, v242                               // 000000029D10: 69E5E4C0
	s_nop 0                                                    // 000000029D14: BF800000
	v_cndmask_b32_e64 v166, v66, v166, s[40:41]                // 000000029D18: D10000A6 00A34D42
	v_cmp_le_u32_e64 s[40:41], v243, v64                       // 000000029D20: D0CB0028 000281F3
	v_add_u32_e32 v243, 64, v243                               // 000000029D28: 69E7E6C0
	s_nop 0                                                    // 000000029D2C: BF800000
	v_cndmask_b32_e64 v167, v66, v167, s[40:41]                // 000000029D30: D10000A7 00A34F42
	v_cmp_le_u32_e64 s[40:41], v240, v64                       // 000000029D38: D0CB0028 000281F0
	v_add_u32_e32 v240, 64, v240                               // 000000029D40: 69E1E0C0
	s_nop 0                                                    // 000000029D44: BF800000
	v_cndmask_b32_e64 v168, v66, v168, s[40:41]                // 000000029D48: D10000A8 00A35142
	v_cmp_le_u32_e64 s[40:41], v241, v64                       // 000000029D50: D0CB0028 000281F1
	v_add_u32_e32 v241, 64, v241                               // 000000029D58: 69E3E2C0
	s_nop 0                                                    // 000000029D5C: BF800000
	v_cndmask_b32_e64 v169, v66, v169, s[40:41]                // 000000029D60: D10000A9 00A35342
	v_cmp_le_u32_e64 s[40:41], v242, v64                       // 000000029D68: D0CB0028 000281F2
	v_add_u32_e32 v242, 64, v242                               // 000000029D70: 69E5E4C0
	s_nop 0                                                    // 000000029D74: BF800000
	v_cndmask_b32_e64 v170, v66, v170, s[40:41]                // 000000029D78: D10000AA 00A35542
	v_cmp_le_u32_e64 s[40:41], v243, v64                       // 000000029D80: D0CB0028 000281F3
	v_add_u32_e32 v243, 64, v243                               // 000000029D88: 69E7E6C0
	s_nop 0                                                    // 000000029D8C: BF800000
	v_cndmask_b32_e64 v171, v66, v171, s[40:41]                // 000000029D90: D10000AB 00A35742
	v_cmp_le_u32_e64 s[40:41], v240, v64                       // 000000029D98: D0CB0028 000281F0
	v_add_u32_e32 v240, 64, v240                               // 000000029DA0: 69E1E0C0
	s_nop 0                                                    // 000000029DA4: BF800000
	v_cndmask_b32_e64 v172, v66, v172, s[40:41]                // 000000029DA8: D10000AC 00A35942
	v_cmp_le_u32_e64 s[40:41], v241, v64                       // 000000029DB0: D0CB0028 000281F1
	v_add_u32_e32 v241, 64, v241                               // 000000029DB8: 69E3E2C0
	s_nop 0                                                    // 000000029DBC: BF800000
	v_cndmask_b32_e64 v173, v66, v173, s[40:41]                // 000000029DC0: D10000AD 00A35B42
	v_cmp_le_u32_e64 s[40:41], v242, v64                       // 000000029DC8: D0CB0028 000281F2
	v_add_u32_e32 v242, 64, v242                               // 000000029DD0: 69E5E4C0
	s_nop 0                                                    // 000000029DD4: BF800000
	v_cndmask_b32_e64 v174, v66, v174, s[40:41]                // 000000029DD8: D10000AE 00A35D42
	v_cmp_le_u32_e64 s[40:41], v243, v64                       // 000000029DE0: D0CB0028 000281F3
	v_add_u32_e32 v243, 64, v243                               // 000000029DE8: 69E7E6C0
	s_nop 0                                                    // 000000029DEC: BF800000
	v_cndmask_b32_e64 v175, v66, v175, s[40:41]                // 000000029DF0: D10000AF 00A35F42

0000000000029df8 <label_9EFE>:
	s_add_u32 s90, s91, s90                                    // 000000029DF8: 805A5A5B
	v_mov_b32_e32 v48, v160                                    // 000000029DFC: 7E6003A0
	v_max3_f32 v48, v160, v161, v48                            // 000000029E00: D1D30030 04C343A0
	v_max3_f32 v48, v162, v163, v48                            // 000000029E08: D1D30030 04C347A2
	v_max3_f32 v48, v164, v165, v48                            // 000000029E10: D1D30030 04C34BA4
	v_max3_f32 v48, v166, v167, v48                            // 000000029E18: D1D30030 04C34FA6
	v_max3_f32 v48, v168, v169, v48                            // 000000029E20: D1D30030 04C353A8
	v_max3_f32 v48, v170, v171, v48                            // 000000029E28: D1D30030 04C357AA
	v_max3_f32 v48, v172, v173, v48                            // 000000029E30: D1D30030 04C35BAC
	v_max3_f32 v48, v174, v175, v48                            // 000000029E38: D1D30030 04C35FAE
	ds_write_b32 v8, v48 offset:16896                          // 000000029E40: D81A4200 00003008
	v_mul_f32_e32 v232, v52, v232                              // 000000029E48: 0BD1D134
	v_mul_f32_e32 v233, v52, v233                              // 000000029E4C: 0BD3D334
	v_mul_f32_e32 v234, v52, v234                              // 000000029E50: 0BD5D534
	v_mul_f32_e32 v235, v52, v235                              // 000000029E54: 0BD7D734
	v_mul_f32_e32 v236, v52, v236                              // 000000029E58: 0BD9D934
	v_mul_f32_e32 v237, v52, v237                              // 000000029E5C: 0BDBDB34
	v_mul_f32_e32 v238, v52, v238                              // 000000029E60: 0BDDDD34
	v_mul_f32_e32 v239, v52, v239                              // 000000029E64: 0BDFDF34
	s_waitcnt lgkmcnt(0)                                       // 000000029E68: BF8CC07F
	s_barrier                                                  // 000000029E6C: BF8A0000
	ds_read_b32 v64, v7 offset:16896                           // 000000029E70: D86C4200 40000007
	ds_read_b32 v65, v7 offset:16960                           // 000000029E78: D86C4240 41000007
	ds_read_b32 v66, v7 offset:17024                           // 000000029E80: D86C4280 42000007
	ds_read_b32 v67, v7 offset:17088                           // 000000029E88: D86C42C0 43000007
	ds_read_b32 v68, v7 offset:17152                           // 000000029E90: D86C4300 44000007
	ds_read_b32 v69, v7 offset:17216                           // 000000029E98: D86C4340 45000007
	ds_read_b32 v70, v7 offset:17280                           // 000000029EA0: D86C4380 46000007
	ds_read_b32 v71, v7 offset:17344                           // 000000029EA8: D86C43C0 47000007
	ds_read_b32 v72, v7 offset:17408                           // 000000029EB0: D86C4400 48000007
	ds_read_b32 v73, v7 offset:17472                           // 000000029EB8: D86C4440 49000007
	ds_read_b32 v74, v7 offset:17536                           // 000000029EC0: D86C4480 4A000007
	ds_read_b32 v75, v7 offset:17600                           // 000000029EC8: D86C44C0 4B000007
	ds_read_b32 v76, v7 offset:17664                           // 000000029ED0: D86C4500 4C000007
	ds_read_b32 v77, v7 offset:17728                           // 000000029ED8: D86C4540 4D000007
	ds_read_b32 v78, v7 offset:17792                           // 000000029EE0: D86C4580 4E000007
	ds_read_b32 v79, v7 offset:17856                           // 000000029EE8: D86C45C0 4F000007
	v_cvt_f32_i32_e32 v200, v200                               // 000000029EF0: 7F900BC8
	v_cvt_f32_i32_e32 v201, v201                               // 000000029EF4: 7F920BC9
	v_cvt_f32_i32_e32 v202, v202                               // 000000029EF8: 7F940BCA
	v_cvt_f32_i32_e32 v203, v203                               // 000000029EFC: 7F960BCB
	v_cvt_f32_i32_e32 v204, v204                               // 000000029F00: 7F980BCC
	v_cvt_f32_i32_e32 v205, v205                               // 000000029F04: 7F9A0BCD
	v_cvt_f32_i32_e32 v206, v206                               // 000000029F08: 7F9C0BCE
	v_cvt_f32_i32_e32 v207, v207                               // 000000029F0C: 7F9E0BCF
	v_mul_f32_e32 v200, v47, v200                              // 000000029F10: 0B91912F
	v_mul_f32_e32 v201, v47, v201                              // 000000029F14: 0B93932F
	v_mul_f32_e32 v202, v47, v202                              // 000000029F18: 0B95952F
	v_mul_f32_e32 v203, v47, v203                              // 000000029F1C: 0B97972F
	v_mul_f32_e32 v204, v47, v204                              // 000000029F20: 0B99992F
	v_mul_f32_e32 v205, v47, v205                              // 000000029F24: 0B9B9B2F
	v_mul_f32_e32 v206, v47, v206                              // 000000029F28: 0B9D9D2F
	v_mul_f32_e32 v207, v47, v207                              // 000000029F2C: 0B9F9F2F
	s_waitcnt lgkmcnt(0)                                       // 000000029F30: BF8CC07F
	v_max3_f32 v48, v64, v65, v48                              // 000000029F34: D1D30030 04C28340
	v_max3_f32 v48, v66, v67, v48                              // 000000029F3C: D1D30030 04C28742
	v_max3_f32 v48, v68, v69, v48                              // 000000029F44: D1D30030 04C28B44
	v_max3_f32 v48, v70, v71, v48                              // 000000029F4C: D1D30030 04C28F46
	v_max3_f32 v48, v72, v73, v48                              // 000000029F54: D1D30030 04C29348
	v_max3_f32 v48, v74, v75, v48                              // 000000029F5C: D1D30030 04C2974A
	v_max3_f32 v48, v76, v77, v48                              // 000000029F64: D1D30030 04C29B4C
	v_max3_f32 v48, v78, v79, v48                              // 000000029F6C: D1D30030 04C29F4E
	v_mov_b32_e32 v64, 0xff800000                              // 000000029F74: 7E8002FF FF800000
	v_cmp_eq_u32_e64 s[40:41], v64, v14                        // 000000029F7C: D0CA0028 00021D40
	s_nop 1                                                    // 000000029F84: BF800001
	v_max_f32_e32 v15, v48, v14                                // 000000029F88: 161E1D30
	v_mul_f32_e32 v53, s64, v15                                // 000000029F8C: 0A6A1E40
	v_fma_f32 v160, v160, s64, -v53                            // 000000029F90: D1CB00A0 84D481A0
	v_fma_f32 v161, v161, s64, -v53                            // 000000029F98: D1CB00A1 84D481A1
	v_fma_f32 v162, v162, s64, -v53                            // 000000029FA0: D1CB00A2 84D481A2
	v_fma_f32 v163, v163, s64, -v53                            // 000000029FA8: D1CB00A3 84D481A3
	v_fma_f32 v164, v164, s64, -v53                            // 000000029FB0: D1CB00A4 84D481A4
	v_fma_f32 v165, v165, s64, -v53                            // 000000029FB8: D1CB00A5 84D481A5
	v_fma_f32 v166, v166, s64, -v53                            // 000000029FC0: D1CB00A6 84D481A6
	v_fma_f32 v167, v167, s64, -v53                            // 000000029FC8: D1CB00A7 84D481A7
	v_fma_f32 v168, v168, s64, -v53                            // 000000029FD0: D1CB00A8 84D481A8
	v_fma_f32 v169, v169, s64, -v53                            // 000000029FD8: D1CB00A9 84D481A9
	v_fma_f32 v170, v170, s64, -v53                            // 000000029FE0: D1CB00AA 84D481AA
	v_fma_f32 v171, v171, s64, -v53                            // 000000029FE8: D1CB00AB 84D481AB
	v_fma_f32 v172, v172, s64, -v53                            // 000000029FF0: D1CB00AC 84D481AC
	v_fma_f32 v173, v173, s64, -v53                            // 000000029FF8: D1CB00AD 84D481AD
	v_fma_f32 v174, v174, s64, -v53                            // 00000002A000: D1CB00AE 84D481AE
	v_fma_f32 v175, v175, s64, -v53                            // 00000002A008: D1CB00AF 84D481AF
	v_exp_f32_e32 v160, v160                                   // 00000002A010: 7F4041A0
	v_exp_f32_e32 v161, v161                                   // 00000002A014: 7F4241A1
	v_exp_f32_e32 v162, v162                                   // 00000002A018: 7F4441A2
	v_exp_f32_e32 v163, v163                                   // 00000002A01C: 7F4641A3
	v_exp_f32_e32 v164, v164                                   // 00000002A020: 7F4841A4
	v_exp_f32_e32 v165, v165                                   // 00000002A024: 7F4A41A5
	v_exp_f32_e32 v166, v166                                   // 00000002A028: 7F4C41A6
	v_exp_f32_e32 v167, v167                                   // 00000002A02C: 7F4E41A7
	v_exp_f32_e32 v168, v168                                   // 00000002A030: 7F5041A8
	v_exp_f32_e32 v169, v169                                   // 00000002A034: 7F5241A9
	v_exp_f32_e32 v170, v170                                   // 00000002A038: 7F5441AA
	v_exp_f32_e32 v171, v171                                   // 00000002A03C: 7F5641AB
	v_exp_f32_e32 v172, v172                                   // 00000002A040: 7F5841AC
	v_exp_f32_e32 v173, v173                                   // 00000002A044: 7F5A41AD
	v_exp_f32_e32 v174, v174                                   // 00000002A048: 7F5C41AE
	v_exp_f32_e32 v175, v175                                   // 00000002A04C: 7F5E41AF
	v_mul_f32_dpp v240, v252, v160 quad_perm:[0,0,0,0] row_mask:0xf bank_mask:0xf// 00000002A050: 0BE140FA FF0000FC
	v_mul_f32_dpp v241, v252, v161 quad_perm:[1,1,1,1] row_mask:0xf bank_mask:0xf// 00000002A058: 0BE342FA FF0055FC
	v_mul_f32_dpp v242, v252, v162 quad_perm:[2,2,2,2] row_mask:0xf bank_mask:0xf// 00000002A060: 0BE544FA FF00AAFC
	v_mul_f32_dpp v243, v252, v163 quad_perm:[3,3,3,3] row_mask:0xf bank_mask:0xf// 00000002A068: 0BE746FA FF00FFFC
	v_mul_f32_dpp v244, v253, v164 quad_perm:[0,0,0,0] row_mask:0xf bank_mask:0xf// 00000002A070: 0BE948FA FF0000FD
	v_mul_f32_dpp v245, v253, v165 quad_perm:[1,1,1,1] row_mask:0xf bank_mask:0xf// 00000002A078: 0BEB4AFA FF0055FD
	v_mul_f32_dpp v246, v253, v166 quad_perm:[2,2,2,2] row_mask:0xf bank_mask:0xf// 00000002A080: 0BED4CFA FF00AAFD
	v_mul_f32_dpp v247, v253, v167 quad_perm:[3,3,3,3] row_mask:0xf bank_mask:0xf// 00000002A088: 0BEF4EFA FF00FFFD
	v_mul_f32_dpp v248, v254, v168 quad_perm:[0,0,0,0] row_mask:0xf bank_mask:0xf// 00000002A090: 0BF150FA FF0000FE
	v_mul_f32_dpp v249, v254, v169 quad_perm:[1,1,1,1] row_mask:0xf bank_mask:0xf// 00000002A098: 0BF352FA FF0055FE
	v_mul_f32_dpp v250, v254, v170 quad_perm:[2,2,2,2] row_mask:0xf bank_mask:0xf// 00000002A0A0: 0BF554FA FF00AAFE
	v_mul_f32_dpp v251, v254, v171 quad_perm:[3,3,3,3] row_mask:0xf bank_mask:0xf// 00000002A0A8: 0BF756FA FF00FFFE
	v_mul_f32_dpp v252, v255, v172 quad_perm:[0,0,0,0] row_mask:0xf bank_mask:0xf// 00000002A0B0: 0BF958FA FF0000FF
	v_mul_f32_dpp v253, v255, v173 quad_perm:[1,1,1,1] row_mask:0xf bank_mask:0xf// 00000002A0B8: 0BFB5AFA FF0055FF
	v_mul_f32_dpp v254, v255, v174 quad_perm:[2,2,2,2] row_mask:0xf bank_mask:0xf// 00000002A0C0: 0BFD5CFA FF00AAFF
	v_mul_f32_dpp v255, v255, v175 quad_perm:[3,3,3,3] row_mask:0xf bank_mask:0xf// 00000002A0C8: 0BFF5EFA FF00FFFF
	v_mov_b32_e32 v48, 0x358637bd                              // 00000002A0D0: 7E6002FF 358637BD
	v_max3_f32 v48, |v240|, |v241|, v48                        // 00000002A0D8: D1D30330 04C3E3F0
	v_max3_f32 v48, |v242|, |v243|, v48                        // 00000002A0E0: D1D30330 04C3E7F2
	v_max3_f32 v48, |v244|, |v245|, v48                        // 00000002A0E8: D1D30330 04C3EBF4
	v_max3_f32 v48, |v246|, |v247|, v48                        // 00000002A0F0: D1D30330 04C3EFF6
	v_max3_f32 v48, |v248|, |v249|, v48                        // 00000002A0F8: D1D30330 04C3F3F8
	v_max3_f32 v48, |v250|, |v251|, v48                        // 00000002A100: D1D30330 04C3F7FA
	v_max3_f32 v48, |v252|, |v253|, v48                        // 00000002A108: D1D30330 04C3FBFC
	v_max3_f32 v48, |v254|, |v255|, v48                        // 00000002A110: D1D30330 04C3FFFE
	ds_write_b32 v8, v48 offset:20992                          // 00000002A118: D81A5200 00003008
	v_sub_f32_e32 v52, v14, v15                                // 00000002A120: 04681F0E
	v_cndmask_b32_e64 v52, v52, 0, s[40:41]                    // 00000002A124: D1000034 00A10134
	v_mov_b32_e32 v14, v15                                     // 00000002A12C: 7E1C030F
	v_mul_f32_e32 v52, s64, v52                                // 00000002A130: 0A686840
	v_exp_f32_e32 v52, v52                                     // 00000002A134: 7E684134
	s_waitcnt lgkmcnt(0)                                       // 00000002A138: BF8CC07F
	s_barrier                                                  // 00000002A13C: BF8A0000
	ds_read_b32 v64, v7 offset:20992                           // 00000002A140: D86C5200 40000007
	ds_read_b32 v65, v7 offset:21056                           // 00000002A148: D86C5240 41000007
	ds_read_b32 v66, v7 offset:21120                           // 00000002A150: D86C5280 42000007
	ds_read_b32 v67, v7 offset:21184                           // 00000002A158: D86C52C0 43000007
	ds_read_b32 v68, v7 offset:21248                           // 00000002A160: D86C5300 44000007
	ds_read_b32 v69, v7 offset:21312                           // 00000002A168: D86C5340 45000007
	ds_read_b32 v70, v7 offset:21376                           // 00000002A170: D86C5380 46000007
	ds_read_b32 v71, v7 offset:21440                           // 00000002A178: D86C53C0 47000007
	ds_read_b32 v72, v7 offset:21504                           // 00000002A180: D86C5400 48000007
	ds_read_b32 v73, v7 offset:21568                           // 00000002A188: D86C5440 49000007
	ds_read_b32 v74, v7 offset:21632                           // 00000002A190: D86C5480 4A000007
	ds_read_b32 v75, v7 offset:21696                           // 00000002A198: D86C54C0 4B000007
	ds_read_b32 v76, v7 offset:21760                           // 00000002A1A0: D86C5500 4C000007
	ds_read_b32 v77, v7 offset:21824                           // 00000002A1A8: D86C5540 4D000007
	ds_read_b32 v78, v7 offset:21888                           // 00000002A1B0: D86C5580 4E000007
	ds_read_b32 v79, v7 offset:21952                           // 00000002A1B8: D86C55C0 4F000007
	v_mul_f32_e32 v41, v52, v41                                // 00000002A1C0: 0A525334
	v_mov_b32_e32 v15, v160                                    // 00000002A1C4: 7E1E03A0
	v_add_f32_e32 v15, v161, v15                               // 00000002A1C8: 021E1FA1
	v_add_f32_e32 v15, v162, v15                               // 00000002A1CC: 021E1FA2
	v_add_f32_e32 v15, v163, v15                               // 00000002A1D0: 021E1FA3
	v_add_f32_e32 v15, v164, v15                               // 00000002A1D4: 021E1FA4
	v_add_f32_e32 v15, v165, v15                               // 00000002A1D8: 021E1FA5
	v_add_f32_e32 v15, v166, v15                               // 00000002A1DC: 021E1FA6
	v_add_f32_e32 v15, v167, v15                               // 00000002A1E0: 021E1FA7
	v_add_f32_e32 v15, v168, v15                               // 00000002A1E4: 021E1FA8
	v_add_f32_e32 v15, v169, v15                               // 00000002A1E8: 021E1FA9
	v_add_f32_e32 v15, v170, v15                               // 00000002A1EC: 021E1FAA
	v_add_f32_e32 v15, v171, v15                               // 00000002A1F0: 021E1FAB
	v_add_f32_e32 v15, v172, v15                               // 00000002A1F4: 021E1FAC
	v_add_f32_e32 v15, v173, v15                               // 00000002A1F8: 021E1FAD
	v_add_f32_e32 v15, v174, v15                               // 00000002A1FC: 021E1FAE
	v_add_f32_e32 v15, v175, v15                               // 00000002A200: 021E1FAF
	v_add_f32_e32 v41, v15, v41                                // 00000002A204: 0252530F
	s_waitcnt lgkmcnt(0)                                       // 00000002A208: BF8CC07F
	v_max3_f32 v48, |v64|, |v65|, v48                          // 00000002A20C: D1D30330 04C28340
	v_max3_f32 v48, |v66|, |v67|, v48                          // 00000002A214: D1D30330 04C28742
	v_max3_f32 v48, |v68|, |v69|, v48                          // 00000002A21C: D1D30330 04C28B44
	v_max3_f32 v48, |v70|, |v71|, v48                          // 00000002A224: D1D30330 04C28F46
	v_max3_f32 v48, |v72|, |v73|, v48                          // 00000002A22C: D1D30330 04C29348
	v_max3_f32 v48, |v74|, |v75|, v48                          // 00000002A234: D1D30330 04C2974A
	v_max3_f32 v48, |v76|, |v77|, v48                          // 00000002A23C: D1D30330 04C29B4C
	v_max3_f32 v48, |v78|, |v79|, v48                          // 00000002A244: D1D30330 04C29F4E
	s_nop 2                                                    // 00000002A24C: BF800002
	v_rcp_f32_e32 v48, v48                                     // 00000002A250: 7E604530
	s_nop 1                                                    // 00000002A254: BF800001
	v_mul_f32_e32 v48, 0x42fe0000, v48                         // 00000002A258: 0A6060FF 42FE0000
	v_mul_f32_e32 v160, v48, v240                              // 00000002A260: 0B41E130
	v_mul_f32_e32 v161, v48, v241                              // 00000002A264: 0B43E330
	v_mul_f32_e32 v162, v48, v242                              // 00000002A268: 0B45E530
	v_mul_f32_e32 v163, v48, v243                              // 00000002A26C: 0B47E730
	v_mul_f32_e32 v164, v48, v244                              // 00000002A270: 0B49E930
	v_mul_f32_e32 v165, v48, v245                              // 00000002A274: 0B4BEB30
	v_mul_f32_e32 v166, v48, v246                              // 00000002A278: 0B4DED30
	v_mul_f32_e32 v167, v48, v247                              // 00000002A27C: 0B4FEF30
	v_mul_f32_e32 v168, v48, v248                              // 00000002A280: 0B51F130
	v_mul_f32_e32 v169, v48, v249                              // 00000002A284: 0B53F330
	v_mul_f32_e32 v170, v48, v250                              // 00000002A288: 0B55F530
	v_mul_f32_e32 v171, v48, v251                              // 00000002A28C: 0B57F730
	v_mul_f32_e32 v172, v48, v252                              // 00000002A290: 0B59F930
	v_mul_f32_e32 v173, v48, v253                              // 00000002A294: 0B5BFB30
	v_mul_f32_e32 v174, v48, v254                              // 00000002A298: 0B5DFD30
	v_mul_f32_e32 v175, v48, v255                              // 00000002A29C: 0B5FFF30
	v_cvt_i32_f32_e32 v160, v160                               // 00000002A2A0: 7F4011A0
	v_cvt_i32_f32_e32 v161, v161                               // 00000002A2A4: 7F4211A1
	v_cvt_i32_f32_e32 v162, v162                               // 00000002A2A8: 7F4411A2
	v_cvt_i32_f32_e32 v163, v163                               // 00000002A2AC: 7F4611A3
	v_cvt_i32_f32_e32 v164, v164                               // 00000002A2B0: 7F4811A4
	v_cvt_i32_f32_e32 v165, v165                               // 00000002A2B4: 7F4A11A5
	v_cvt_i32_f32_e32 v166, v166                               // 00000002A2B8: 7F4C11A6
	v_cvt_i32_f32_e32 v167, v167                               // 00000002A2BC: 7F4E11A7
	v_cvt_i32_f32_e32 v168, v168                               // 00000002A2C0: 7F5011A8
	v_cvt_i32_f32_e32 v169, v169                               // 00000002A2C4: 7F5211A9
	v_cvt_i32_f32_e32 v170, v170                               // 00000002A2C8: 7F5411AA
	v_cvt_i32_f32_e32 v171, v171                               // 00000002A2CC: 7F5611AB
	v_cvt_i32_f32_e32 v172, v172                               // 00000002A2D0: 7F5811AC
	v_cvt_i32_f32_e32 v173, v173                               // 00000002A2D4: 7F5A11AD
	v_cvt_i32_f32_e32 v174, v174                               // 00000002A2D8: 7F5C11AE
	v_cvt_i32_f32_e32 v175, v175                               // 00000002A2DC: 7F5E11AF
	v_perm_b32 v160, v161, v160, s53                           // 00000002A2E0: D1ED00A0 00D741A1
	v_perm_b32 v160, v162, v160, s54                           // 00000002A2E8: D1ED00A0 00DB41A2
	v_perm_b32 v160, v163, v160, s55                           // 00000002A2F0: D1ED00A0 00DF41A3
	v_perm_b32 v161, v165, v164, s53                           // 00000002A2F8: D1ED00A1 00D749A5
	v_perm_b32 v161, v166, v161, s54                           // 00000002A300: D1ED00A1 00DB43A6
	v_perm_b32 v161, v167, v161, s55                           // 00000002A308: D1ED00A1 00DF43A7
	v_perm_b32 v162, v169, v168, s53                           // 00000002A310: D1ED00A2 00D751A9
	v_perm_b32 v162, v170, v162, s54                           // 00000002A318: D1ED00A2 00DB45AA
	v_perm_b32 v162, v171, v162, s55                           // 00000002A320: D1ED00A2 00DF45AB
	v_perm_b32 v163, v173, v172, s53                           // 00000002A328: D1ED00A3 00D759AD
	v_perm_b32 v163, v174, v163, s54                           // 00000002A330: D1ED00A3 00DB47AE
	v_perm_b32 v163, v175, v163, s55                           // 00000002A338: D1ED00A3 00DF47AF
	ds_write_b32 v10, v160 offset:37376                        // 00000002A340: D81A9200 0000A00A
	ds_write_b32 v10, v161 offset:38400                        // 00000002A348: D81A9600 0000A10A
	ds_write_b32 v10, v162 offset:39424                        // 00000002A350: D81A9A00 0000A20A
	ds_write_b32 v10, v163 offset:40448                        // 00000002A358: D81A9E00 0000A30A
	v_add_f32_e32 v232, v232, v200                             // 00000002A360: 03D191E8
	v_add_f32_e32 v233, v233, v201                             // 00000002A364: 03D393E9
	v_add_f32_e32 v234, v234, v202                             // 00000002A368: 03D595EA
	v_add_f32_e32 v235, v235, v203                             // 00000002A36C: 03D797EB
	v_add_f32_e32 v236, v236, v204                             // 00000002A370: 03D999EC
	v_add_f32_e32 v237, v237, v205                             // 00000002A374: 03DB9BED
	v_add_f32_e32 v238, v238, v206                             // 00000002A378: 03DD9DEE
	v_add_f32_e32 v239, v239, v207                             // 00000002A37C: 03DF9FEF
	v_rcp_f32_e32 v47, v48                                     // 00000002A380: 7E5E4530
	s_waitcnt lgkmcnt(0)                                       // 00000002A384: BF8CC07F
	s_barrier                                                  // 00000002A388: BF8A0000
	ds_read_b64 v[160:161], v9 offset:37376                    // 00000002A38C: D8EC9200 A0000009
	ds_read_b64 v[162:163], v9 offset:37504                    // 00000002A394: D8EC9280 A2000009
	ds_read_b64 v[164:165], v9 offset:38400                    // 00000002A39C: D8EC9600 A4000009
	ds_read_b64 v[166:167], v9 offset:38528                    // 00000002A3A4: D8EC9680 A6000009
	ds_read_b64 v[168:169], v9 offset:39424                    // 00000002A3AC: D8EC9A00 A8000009
	ds_read_b64 v[170:171], v9 offset:39552                    // 00000002A3B4: D8EC9A80 AA000009
	ds_read_b64 v[172:173], v9 offset:40448                    // 00000002A3BC: D8EC9E00 AC000009
	ds_read_b64 v[174:175], v9 offset:40576                    // 00000002A3C4: D8EC9E80 AE000009
	s_waitcnt vmcnt(15)                                        // 00000002A3CC: BF8C0F7F
	v_mfma_i32_16x16x32_i8 v[176:179], a[96:97], v[112:113], 0 // 00000002A3D0: D3D700B0 0A02E160
	buffer_load_dwordx4 a[80:83], v30, s[20:23], 0 offen offset:1024// 00000002A3D8: E05C1400 8085501E
	v_mfma_i32_16x16x32_i8 v[176:179], a[98:99], v[114:115], v[176:179]// 00000002A3E0: D3D700B0 0EC2E562
	v_mfma_i32_16x16x32_i8 v[176:179], a[100:101], v[116:117], v[176:179]// 00000002A3E8: D3D700B0 0EC2E964
	v_mfma_i32_16x16x32_i8 v[176:179], a[102:103], v[118:119], v[176:179]// 00000002A3F0: D3D700B0 0EC2ED66
	v_mfma_i32_16x16x32_i8 v[176:179], a[104:105], v[120:121], v[176:179]// 00000002A3F8: D3D700B0 0EC2F168
	buffer_load_dwordx4 a[84:87], v31, s[20:23], 0 offen offset:1024// 00000002A400: E05C1400 8085541F
	v_mfma_i32_16x16x32_i8 v[176:179], a[106:107], v[122:123], v[176:179]// 00000002A408: D3D700B0 0EC2F56A
	v_mfma_i32_16x16x32_i8 v[176:179], a[108:109], v[124:125], v[176:179]// 00000002A410: D3D700B0 0EC2F96C
	v_mfma_i32_16x16x32_i8 v[176:179], a[110:111], v[126:127], v[176:179]// 00000002A418: D3D700B0 0EC2FD6E
	v_mfma_i32_16x16x32_i8 v[180:183], a[112:113], v[112:113], 0// 00000002A420: D3D700B4 0A02E170
	buffer_load_dwordx4 a[88:91], v32, s[20:23], 0 offen offset:1024// 00000002A428: E05C1400 80855820
	v_mfma_i32_16x16x32_i8 v[180:183], a[114:115], v[114:115], v[180:183]// 00000002A430: D3D700B4 0ED2E572
	v_mfma_i32_16x16x32_i8 v[180:183], a[116:117], v[116:117], v[180:183]// 00000002A438: D3D700B4 0ED2E974
	v_mfma_i32_16x16x32_i8 v[180:183], a[118:119], v[118:119], v[180:183]// 00000002A440: D3D700B4 0ED2ED76
	v_mfma_i32_16x16x32_i8 v[180:183], a[120:121], v[120:121], v[180:183]// 00000002A448: D3D700B4 0ED2F178
	buffer_load_dwordx4 a[92:95], v33, s[20:23], 0 offen offset:1024// 00000002A450: E05C1400 80855C21
	v_mfma_i32_16x16x32_i8 v[180:183], a[122:123], v[122:123], v[180:183]// 00000002A458: D3D700B4 0ED2F57A
	v_mfma_i32_16x16x32_i8 v[180:183], a[124:125], v[124:125], v[180:183]// 00000002A460: D3D700B4 0ED2F97C
	s_lshr_b32 s57, s70, 4                                     // 00000002A468: 8F398446
	s_add_u32 s57, 48, s57                                     // 00000002A46C: 803939B0
	v_mfma_i32_16x16x32_i8 v[180:183], a[126:127], v[126:127], v[180:183]// 00000002A470: D3D700B4 0ED2FD7E
	s_cmp_ge_u32 s57, s73                                      // 00000002A478: BF094939
	s_cselect_b32 s56, 0, s56                                  // 00000002A47C: 85383880
	v_mfma_i32_16x16x32_i8 v[184:187], a[96:97], v[128:129], 0 // 00000002A480: D3D700B8 0A030160
	v_mfma_i32_16x16x32_i8 v[184:187], a[98:99], v[130:131], v[184:187]// 00000002A488: D3D700B8 0EE30562
	v_mfma_i32_16x16x32_i8 v[184:187], a[100:101], v[132:133], v[184:187]// 00000002A490: D3D700B8 0EE30964
	v_mfma_i32_16x16x32_i8 v[184:187], a[102:103], v[134:135], v[184:187]// 00000002A498: D3D700B8 0EE30D66
	v_mfma_i32_16x16x32_i8 v[184:187], a[104:105], v[136:137], v[184:187]// 00000002A4A0: D3D700B8 0EE31168
	v_mfma_i32_16x16x32_i8 v[184:187], a[106:107], v[138:139], v[184:187]// 00000002A4A8: D3D700B8 0EE3156A
	v_mfma_i32_16x16x32_i8 v[184:187], a[108:109], v[140:141], v[184:187]// 00000002A4B0: D3D700B8 0EE3196C
	v_mfma_i32_16x16x32_i8 v[184:187], a[110:111], v[142:143], v[184:187]// 00000002A4B8: D3D700B8 0EE31D6E
	v_mfma_i32_16x16x32_i8 v[188:191], a[112:113], v[128:129], 0// 00000002A4C0: D3D700BC 0A030170
	v_mfma_i32_16x16x32_i8 v[188:191], a[114:115], v[130:131], v[188:191]// 00000002A4C8: D3D700BC 0EF30572
	v_mfma_i32_16x16x32_i8 v[188:191], a[116:117], v[132:133], v[188:191]// 00000002A4D0: D3D700BC 0EF30974
	v_mfma_i32_16x16x32_i8 v[188:191], a[118:119], v[134:135], v[188:191]// 00000002A4D8: D3D700BC 0EF30D76
	v_mfma_i32_16x16x32_i8 v[188:191], a[120:121], v[136:137], v[188:191]// 00000002A4E0: D3D700BC 0EF31178
	v_mfma_i32_16x16x32_i8 v[188:191], a[122:123], v[138:139], v[188:191]// 00000002A4E8: D3D700BC 0EF3157A
	v_mfma_i32_16x16x32_i8 v[188:191], a[124:125], v[140:141], v[188:191]// 00000002A4F0: D3D700BC 0EF3197C
	v_mfma_i32_16x16x32_i8 v[188:191], a[126:127], v[142:143], v[188:191]// 00000002A4F8: D3D700BC 0EF31D7E
	v_mfma_i32_16x16x32_i8 v[192:195], a[96:97], v[144:145], 0 // 00000002A500: D3D700C0 0A032160
	v_mfma_i32_16x16x32_i8 v[192:195], a[98:99], v[146:147], v[192:195]// 00000002A508: D3D700C0 0F032562
	v_mfma_i32_16x16x32_i8 v[192:195], a[100:101], v[148:149], v[192:195]// 00000002A510: D3D700C0 0F032964
	v_mfma_i32_16x16x32_i8 v[192:195], a[102:103], v[150:151], v[192:195]// 00000002A518: D3D700C0 0F032D66
	v_mfma_i32_16x16x32_i8 v[192:195], a[104:105], v[152:153], v[192:195]// 00000002A520: D3D700C0 0F033168
	v_mfma_i32_16x16x32_i8 v[192:195], a[106:107], v[154:155], v[192:195]// 00000002A528: D3D700C0 0F03356A
	v_mfma_i32_16x16x32_i8 v[192:195], a[108:109], v[156:157], v[192:195]// 00000002A530: D3D700C0 0F03396C
	v_mfma_i32_16x16x32_i8 v[192:195], a[110:111], v[158:159], v[192:195]// 00000002A538: D3D700C0 0F033D6E
	v_mfma_i32_16x16x32_i8 v[196:199], a[112:113], v[144:145], 0// 00000002A540: D3D700C4 0A032170
	v_mfma_i32_16x16x32_i8 v[196:199], a[114:115], v[146:147], v[196:199]// 00000002A548: D3D700C4 0F132572
	v_mfma_i32_16x16x32_i8 v[196:199], a[116:117], v[148:149], v[196:199]// 00000002A550: D3D700C4 0F132974
	v_mfma_i32_16x16x32_i8 v[196:199], a[118:119], v[150:151], v[196:199]// 00000002A558: D3D700C4 0F132D76
	v_mfma_i32_16x16x32_i8 v[196:199], a[120:121], v[152:153], v[196:199]// 00000002A560: D3D700C4 0F133178
	v_mfma_i32_16x16x32_i8 v[196:199], a[122:123], v[154:155], v[196:199]// 00000002A568: D3D700C4 0F13357A
	v_mfma_i32_16x16x32_i8 v[196:199], a[124:125], v[156:157], v[196:199]// 00000002A570: D3D700C4 0F13397C
	v_mfma_i32_16x16x32_i8 v[196:199], a[126:127], v[158:159], v[196:199]// 00000002A578: D3D700C4 0F133D7E
	v_mfma_i32_16x16x32_i8 v[200:203], a[96:97], v[160:161], 0 // 00000002A580: D3D700C8 0A034160
	v_mfma_i32_16x16x32_i8 v[200:203], a[98:99], v[162:163], v[200:203]// 00000002A588: D3D700C8 0F234562
	v_mfma_i32_16x16x32_i8 v[200:203], a[100:101], v[164:165], v[200:203]// 00000002A590: D3D700C8 0F234964
	v_mfma_i32_16x16x32_i8 v[200:203], a[102:103], v[166:167], v[200:203]// 00000002A598: D3D700C8 0F234D66
	v_mfma_i32_16x16x32_i8 v[200:203], a[104:105], v[168:169], v[200:203]// 00000002A5A0: D3D700C8 0F235168
	v_mfma_i32_16x16x32_i8 v[200:203], a[106:107], v[170:171], v[200:203]// 00000002A5A8: D3D700C8 0F23556A
	v_mfma_i32_16x16x32_i8 v[200:203], a[108:109], v[172:173], v[200:203]// 00000002A5B0: D3D700C8 0F23596C
	v_mfma_i32_16x16x32_i8 v[200:203], a[110:111], v[174:175], v[200:203]// 00000002A5B8: D3D700C8 0F235D6E
	v_mfma_i32_16x16x32_i8 v[204:207], a[112:113], v[160:161], 0// 00000002A5C0: D3D700CC 0A034170
	v_mfma_i32_16x16x32_i8 v[204:207], a[114:115], v[162:163], v[204:207]// 00000002A5C8: D3D700CC 0F334572
	v_mfma_i32_16x16x32_i8 v[204:207], a[116:117], v[164:165], v[204:207]// 00000002A5D0: D3D700CC 0F334974
	v_mfma_i32_16x16x32_i8 v[204:207], a[118:119], v[166:167], v[204:207]// 00000002A5D8: D3D700CC 0F334D76
	v_mfma_i32_16x16x32_i8 v[204:207], a[120:121], v[168:169], v[204:207]// 00000002A5E0: D3D700CC 0F335178
	v_mfma_i32_16x16x32_i8 v[204:207], a[122:123], v[170:171], v[204:207]// 00000002A5E8: D3D700CC 0F33557A
	v_mfma_i32_16x16x32_i8 v[204:207], a[124:125], v[172:173], v[204:207]// 00000002A5F0: D3D700CC 0F33597C
	v_mfma_i32_16x16x32_i8 v[204:207], a[126:127], v[174:175], v[204:207]// 00000002A5F8: D3D700CC 0F335D7E
	v_add_u32_e32 v1, s56, v1                                  // 00000002A600: 68020238
	s_addk_i32 s70, 0x100                                      // 00000002A604: B7460100
	s_cmp_lt_i32 s70, s71                                      // 00000002A608: BF044746
	s_cbranch_scc0 label_8B8B                                  // 00000002A60C: BF84EA87
	s_branch label_8B8E                                        // 00000002A610: BF82EA89

000000000002a614 <label_A105>:
	s_lshr_b32 s60, s71, 4                                     // 00000002A614: 8F3C8447
	s_cmp_eq_i32 s60, s73                                      // 00000002A618: BF00493C
	s_cbranch_scc1 label_B96A                                  // 00000002A61C: BF851862
	s_lshr_b32 s60, s71, 8                                     // 00000002A620: 8F3C8847
	s_and_b32 s60, s60, 1                                      // 00000002A624: 863C813C
	s_cmp_eq_i32 s60, 1                                        // 00000002A628: BF00813C
	s_cbranch_scc1 label_AD3B                                  // 00000002A62C: BF850C2F
	s_waitcnt vmcnt(8) lgkmcnt(0)                              // 00000002A630: BF8C0078
	s_barrier                                                  // 00000002A634: BF8A0000
	v_mfma_i32_16x16x32_i8 v[112:115], a[0:1], v[80:81], 0     // 00000002A638: D3D70070 0A02A100
	v_mfma_i32_16x16x32_i8 v[112:115], a[2:3], v[82:83], v[112:115]// 00000002A640: D3D70070 0DC2A502
	v_mfma_i32_16x16x32_i8 v[112:115], a[4:5], v[84:85], v[112:115]// 00000002A648: D3D70070 0DC2A904
	v_mfma_i32_16x16x32_i8 v[112:115], a[6:7], v[86:87], v[112:115]// 00000002A650: D3D70070 0DC2AD06
	v_mfma_i32_16x16x32_i8 v[116:119], a[8:9], v[80:81], 0     // 00000002A658: D3D70074 0A02A108
	v_mfma_i32_16x16x32_i8 v[116:119], a[10:11], v[82:83], v[116:119]// 00000002A660: D3D70074 0DD2A50A
	v_mfma_i32_16x16x32_i8 v[116:119], a[12:13], v[84:85], v[116:119]// 00000002A668: D3D70074 0DD2A90C
	v_mfma_i32_16x16x32_i8 v[116:119], a[14:15], v[86:87], v[116:119]// 00000002A670: D3D70074 0DD2AD0E
	v_mfma_i32_16x16x32_i8 v[120:123], a[16:17], v[80:81], 0   // 00000002A678: D3D70078 0A02A110
	v_mfma_i32_16x16x32_i8 v[120:123], a[18:19], v[82:83], v[120:123]// 00000002A680: D3D70078 0DE2A512
	v_mfma_i32_16x16x32_i8 v[120:123], a[20:21], v[84:85], v[120:123]// 00000002A688: D3D70078 0DE2A914
	v_mfma_i32_16x16x32_i8 v[120:123], a[22:23], v[86:87], v[120:123]// 00000002A690: D3D70078 0DE2AD16
	v_mfma_i32_16x16x32_i8 v[124:127], a[24:25], v[80:81], 0   // 00000002A698: D3D7007C 0A02A118
	v_mfma_i32_16x16x32_i8 v[124:127], a[26:27], v[82:83], v[124:127]// 00000002A6A0: D3D7007C 0DF2A51A
	v_mfma_i32_16x16x32_i8 v[124:127], a[28:29], v[84:85], v[124:127]// 00000002A6A8: D3D7007C 0DF2A91C
	v_mfma_i32_16x16x32_i8 v[124:127], a[30:31], v[86:87], v[124:127]// 00000002A6B0: D3D7007C 0DF2AD1E
	v_mfma_i32_16x16x32_i8 v[128:131], a[0:1], v[88:89], 0     // 00000002A6B8: D3D70080 0A02B100
	v_mfma_i32_16x16x32_i8 v[128:131], a[2:3], v[90:91], v[128:131]// 00000002A6C0: D3D70080 0E02B502
	v_mfma_i32_16x16x32_i8 v[128:131], a[4:5], v[92:93], v[128:131]// 00000002A6C8: D3D70080 0E02B904
	v_mfma_i32_16x16x32_i8 v[128:131], a[6:7], v[94:95], v[128:131]// 00000002A6D0: D3D70080 0E02BD06
	v_mfma_i32_16x16x32_i8 v[132:135], a[8:9], v[88:89], 0     // 00000002A6D8: D3D70084 0A02B108
	v_mfma_i32_16x16x32_i8 v[132:135], a[10:11], v[90:91], v[132:135]// 00000002A6E0: D3D70084 0E12B50A
	v_mfma_i32_16x16x32_i8 v[132:135], a[12:13], v[92:93], v[132:135]// 00000002A6E8: D3D70084 0E12B90C
	v_mfma_i32_16x16x32_i8 v[132:135], a[14:15], v[94:95], v[132:135]// 00000002A6F0: D3D70084 0E12BD0E
	v_mfma_i32_16x16x32_i8 v[136:139], a[16:17], v[88:89], 0   // 00000002A6F8: D3D70088 0A02B110
	v_mfma_i32_16x16x32_i8 v[136:139], a[18:19], v[90:91], v[136:139]// 00000002A700: D3D70088 0E22B512
	v_mfma_i32_16x16x32_i8 v[136:139], a[20:21], v[92:93], v[136:139]// 00000002A708: D3D70088 0E22B914
	v_mfma_i32_16x16x32_i8 v[136:139], a[22:23], v[94:95], v[136:139]// 00000002A710: D3D70088 0E22BD16
	v_mfma_i32_16x16x32_i8 v[140:143], a[24:25], v[88:89], 0   // 00000002A718: D3D7008C 0A02B118
	v_mfma_i32_16x16x32_i8 v[140:143], a[26:27], v[90:91], v[140:143]// 00000002A720: D3D7008C 0E32B51A
	v_mfma_i32_16x16x32_i8 v[140:143], a[28:29], v[92:93], v[140:143]// 00000002A728: D3D7008C 0E32B91C
	v_mfma_i32_16x16x32_i8 v[140:143], a[30:31], v[94:95], v[140:143]// 00000002A730: D3D7008C 0E32BD1E
	v_mfma_i32_16x16x32_i8 v[144:147], a[0:1], v[96:97], 0     // 00000002A738: D3D70090 0A02C100
	v_mfma_i32_16x16x32_i8 v[144:147], a[2:3], v[98:99], v[144:147]// 00000002A740: D3D70090 0E42C502
	v_mfma_i32_16x16x32_i8 v[144:147], a[4:5], v[100:101], v[144:147]// 00000002A748: D3D70090 0E42C904
	v_mfma_i32_16x16x32_i8 v[144:147], a[6:7], v[102:103], v[144:147]// 00000002A750: D3D70090 0E42CD06
	v_mfma_i32_16x16x32_i8 v[148:151], a[8:9], v[96:97], 0     // 00000002A758: D3D70094 0A02C108
	v_mfma_i32_16x16x32_i8 v[148:151], a[10:11], v[98:99], v[148:151]// 00000002A760: D3D70094 0E52C50A
	v_mfma_i32_16x16x32_i8 v[148:151], a[12:13], v[100:101], v[148:151]// 00000002A768: D3D70094 0E52C90C
	v_mfma_i32_16x16x32_i8 v[148:151], a[14:15], v[102:103], v[148:151]// 00000002A770: D3D70094 0E52CD0E
	v_mfma_i32_16x16x32_i8 v[152:155], a[16:17], v[96:97], 0   // 00000002A778: D3D70098 0A02C110
	v_mfma_i32_16x16x32_i8 v[152:155], a[18:19], v[98:99], v[152:155]// 00000002A780: D3D70098 0E62C512
	v_mfma_i32_16x16x32_i8 v[152:155], a[20:21], v[100:101], v[152:155]// 00000002A788: D3D70098 0E62C914
	v_mfma_i32_16x16x32_i8 v[152:155], a[22:23], v[102:103], v[152:155]// 00000002A790: D3D70098 0E62CD16
	v_mfma_i32_16x16x32_i8 v[156:159], a[24:25], v[96:97], 0   // 00000002A798: D3D7009C 0A02C118
	v_mfma_i32_16x16x32_i8 v[156:159], a[26:27], v[98:99], v[156:159]// 00000002A7A0: D3D7009C 0E72C51A
	v_mfma_i32_16x16x32_i8 v[156:159], a[28:29], v[100:101], v[156:159]// 00000002A7A8: D3D7009C 0E72C91C
	v_mfma_i32_16x16x32_i8 v[156:159], a[30:31], v[102:103], v[156:159]// 00000002A7B0: D3D7009C 0E72CD1E
	v_mfma_i32_16x16x32_i8 v[160:163], a[0:1], v[104:105], 0   // 00000002A7B8: D3D700A0 0A02D100
	v_mfma_i32_16x16x32_i8 v[160:163], a[2:3], v[106:107], v[160:163]// 00000002A7C0: D3D700A0 0E82D502
	v_mfma_i32_16x16x32_i8 v[160:163], a[4:5], v[108:109], v[160:163]// 00000002A7C8: D3D700A0 0E82D904
	v_mfma_i32_16x16x32_i8 v[160:163], a[6:7], v[110:111], v[160:163]// 00000002A7D0: D3D700A0 0E82DD06
	v_mfma_i32_16x16x32_i8 v[164:167], a[8:9], v[104:105], 0   // 00000002A7D8: D3D700A4 0A02D108
	v_mfma_i32_16x16x32_i8 v[164:167], a[10:11], v[106:107], v[164:167]// 00000002A7E0: D3D700A4 0E92D50A
	v_mfma_i32_16x16x32_i8 v[164:167], a[12:13], v[108:109], v[164:167]// 00000002A7E8: D3D700A4 0E92D90C
	v_mfma_i32_16x16x32_i8 v[164:167], a[14:15], v[110:111], v[164:167]// 00000002A7F0: D3D700A4 0E92DD0E
	v_mfma_i32_16x16x32_i8 v[168:171], a[16:17], v[104:105], 0 // 00000002A7F8: D3D700A8 0A02D110
	v_mfma_i32_16x16x32_i8 v[168:171], a[18:19], v[106:107], v[168:171]// 00000002A800: D3D700A8 0EA2D512
	v_mfma_i32_16x16x32_i8 v[168:171], a[20:21], v[108:109], v[168:171]// 00000002A808: D3D700A8 0EA2D914
	v_mfma_i32_16x16x32_i8 v[168:171], a[22:23], v[110:111], v[168:171]// 00000002A810: D3D700A8 0EA2DD16
	v_mfma_i32_16x16x32_i8 v[172:175], a[24:25], v[104:105], 0 // 00000002A818: D3D700AC 0A02D118
	v_mfma_i32_16x16x32_i8 v[172:175], a[26:27], v[106:107], v[172:175]// 00000002A820: D3D700AC 0EB2D51A
	v_mfma_i32_16x16x32_i8 v[172:175], a[28:29], v[108:109], v[172:175]// 00000002A828: D3D700AC 0EB2D91C
	v_mfma_i32_16x16x32_i8 v[172:175], a[30:31], v[110:111], v[172:175]// 00000002A830: D3D700AC 0EB2DD1E
	v_mov_b32_dpp v64, v42 row_shr:4 row_mask:0xf bank_mask:0xf// 00000002A838: 7E8002FA FF01142A
	v_mov_b32_dpp v65, v42 row_shl:4 row_mask:0xf bank_mask:0xf// 00000002A840: 7E8202FA FF01042A
	v_cndmask_b32_e64 v248, v42, v64, s[44:45]                 // 00000002A848: D10000F8 00B2812A
	v_cndmask_b32_e64 v249, v65, v42, s[44:45]                 // 00000002A850: D10000F9 00B25541
	v_mov_b32_dpp v64, v248 row_shr:8 row_mask:0xf bank_mask:0xf// 00000002A858: 7E8002FA FF0118F8
	v_mov_b32_dpp v65, v248 row_shl:8 row_mask:0xf bank_mask:0xf// 00000002A860: 7E8202FA FF0108F8
	v_mov_b32_dpp v66, v249 row_shr:8 row_mask:0xf bank_mask:0xf// 00000002A868: 7E8402FA FF0118F9
	v_mov_b32_dpp v67, v249 row_shl:8 row_mask:0xf bank_mask:0xf// 00000002A870: 7E8602FA FF0108F9
	v_mov_b32_e32 v68, v248                                    // 00000002A878: 7E8803F8
	v_mov_b32_e32 v69, v249                                    // 00000002A87C: 7E8A03F9
	v_cndmask_b32_e64 v248, v68, v64, s[42:43]                 // 00000002A880: D10000F8 00AA8144
	v_cndmask_b32_e64 v250, v68, v65, s[78:79]                 // 00000002A888: D10000FA 013A8344
	v_cndmask_b32_e64 v249, v69, v66, s[42:43]                 // 00000002A890: D10000F9 00AA8545
	v_cndmask_b32_e64 v251, v69, v67, s[78:79]                 // 00000002A898: D10000FB 013A8745
	v_mov_b32_dpp v64, v57 row_shr:4 row_mask:0xf bank_mask:0xf// 00000002A8A0: 7E8002FA FF011439
	v_mov_b32_dpp v65, v57 row_shl:4 row_mask:0xf bank_mask:0xf// 00000002A8A8: 7E8202FA FF010439
	v_cndmask_b32_e64 v252, v57, v64, s[44:45]                 // 00000002A8B0: D10000FC 00B28139
	v_cndmask_b32_e64 v253, v65, v57, s[44:45]                 // 00000002A8B8: D10000FD 00B27341
	v_mov_b32_dpp v64, v252 row_shr:8 row_mask:0xf bank_mask:0xf// 00000002A8C0: 7E8002FA FF0118FC
	v_mov_b32_dpp v65, v252 row_shl:8 row_mask:0xf bank_mask:0xf// 00000002A8C8: 7E8202FA FF0108FC
	v_mov_b32_dpp v66, v253 row_shr:8 row_mask:0xf bank_mask:0xf// 00000002A8D0: 7E8402FA FF0118FD
	v_mov_b32_dpp v67, v253 row_shl:8 row_mask:0xf bank_mask:0xf// 00000002A8D8: 7E8602FA FF0108FD
	v_mov_b32_e32 v68, v252                                    // 00000002A8E0: 7E8803FC
	v_mov_b32_e32 v69, v253                                    // 00000002A8E4: 7E8A03FD
	v_cndmask_b32_e64 v252, v68, v64, s[42:43]                 // 00000002A8E8: D10000FC 00AA8144
	v_cndmask_b32_e64 v254, v68, v65, s[78:79]                 // 00000002A8F0: D10000FE 013A8344
	v_cndmask_b32_e64 v253, v69, v66, s[42:43]                 // 00000002A8F8: D10000FD 00AA8545
	v_cndmask_b32_e64 v255, v69, v67, s[78:79]                 // 00000002A900: D10000FF 013A8745
	v_cvt_f32_i32_e32 v112, v112                               // 00000002A908: 7EE00B70
	v_cvt_f32_i32_e32 v113, v113                               // 00000002A90C: 7EE20B71
	v_cvt_f32_i32_e32 v114, v114                               // 00000002A910: 7EE40B72
	v_cvt_f32_i32_e32 v115, v115                               // 00000002A914: 7EE60B73
	v_cvt_f32_i32_e32 v116, v116                               // 00000002A918: 7EE80B74
	v_cvt_f32_i32_e32 v117, v117                               // 00000002A91C: 7EEA0B75
	v_cvt_f32_i32_e32 v118, v118                               // 00000002A920: 7EEC0B76
	v_cvt_f32_i32_e32 v119, v119                               // 00000002A924: 7EEE0B77
	v_cvt_f32_i32_e32 v120, v120                               // 00000002A928: 7EF00B78
	v_cvt_f32_i32_e32 v121, v121                               // 00000002A92C: 7EF20B79
	v_cvt_f32_i32_e32 v122, v122                               // 00000002A930: 7EF40B7A
	v_cvt_f32_i32_e32 v123, v123                               // 00000002A934: 7EF60B7B
	v_cvt_f32_i32_e32 v124, v124                               // 00000002A938: 7EF80B7C
	v_cvt_f32_i32_e32 v125, v125                               // 00000002A93C: 7EFA0B7D
	v_cvt_f32_i32_e32 v126, v126                               // 00000002A940: 7EFC0B7E
	v_cvt_f32_i32_e32 v127, v127                               // 00000002A944: 7EFE0B7F
	v_mul_f32_e32 v112, v18, v112                              // 00000002A948: 0AE0E112
	v_mul_f32_e32 v113, v18, v113                              // 00000002A94C: 0AE2E312
	v_mul_f32_e32 v114, v18, v114                              // 00000002A950: 0AE4E512
	v_mul_f32_e32 v115, v18, v115                              // 00000002A954: 0AE6E712
	v_mul_f32_e32 v116, v18, v116                              // 00000002A958: 0AE8E912
	v_mul_f32_e32 v117, v18, v117                              // 00000002A95C: 0AEAEB12
	v_mul_f32_e32 v118, v18, v118                              // 00000002A960: 0AECED12
	v_mul_f32_e32 v119, v18, v119                              // 00000002A964: 0AEEEF12
	v_mul_f32_e32 v120, v18, v120                              // 00000002A968: 0AF0F112
	v_mul_f32_e32 v121, v18, v121                              // 00000002A96C: 0AF2F312
	v_mul_f32_e32 v122, v18, v122                              // 00000002A970: 0AF4F512
	v_mul_f32_e32 v123, v18, v123                              // 00000002A974: 0AF6F712
	v_mul_f32_e32 v124, v18, v124                              // 00000002A978: 0AF8F912
	v_mul_f32_e32 v125, v18, v125                              // 00000002A97C: 0AFAFB12
	v_mul_f32_e32 v126, v18, v126                              // 00000002A980: 0AFCFD12
	v_mul_f32_e32 v127, v18, v127                              // 00000002A984: 0AFEFF12
	v_mul_f32_dpp v112, v248, v112 quad_perm:[0,0,0,0] row_mask:0xf bank_mask:0xf// 00000002A988: 0AE0E0FA FF0000F8
	v_mul_f32_dpp v113, v248, v113 quad_perm:[1,1,1,1] row_mask:0xf bank_mask:0xf// 00000002A990: 0AE2E2FA FF0055F8
	v_mul_f32_dpp v114, v248, v114 quad_perm:[2,2,2,2] row_mask:0xf bank_mask:0xf// 00000002A998: 0AE4E4FA FF00AAF8
	v_mul_f32_dpp v115, v248, v115 quad_perm:[3,3,3,3] row_mask:0xf bank_mask:0xf// 00000002A9A0: 0AE6E6FA FF00FFF8
	v_mul_f32_dpp v116, v249, v116 quad_perm:[0,0,0,0] row_mask:0xf bank_mask:0xf// 00000002A9A8: 0AE8E8FA FF0000F9
	v_mul_f32_dpp v117, v249, v117 quad_perm:[1,1,1,1] row_mask:0xf bank_mask:0xf// 00000002A9B0: 0AEAEAFA FF0055F9
	v_mul_f32_dpp v118, v249, v118 quad_perm:[2,2,2,2] row_mask:0xf bank_mask:0xf// 00000002A9B8: 0AECECFA FF00AAF9
	v_mul_f32_dpp v119, v249, v119 quad_perm:[3,3,3,3] row_mask:0xf bank_mask:0xf// 00000002A9C0: 0AEEEEFA FF00FFF9
	v_mul_f32_dpp v120, v250, v120 quad_perm:[0,0,0,0] row_mask:0xf bank_mask:0xf// 00000002A9C8: 0AF0F0FA FF0000FA
	v_mul_f32_dpp v121, v250, v121 quad_perm:[1,1,1,1] row_mask:0xf bank_mask:0xf// 00000002A9D0: 0AF2F2FA FF0055FA
	v_mul_f32_dpp v122, v250, v122 quad_perm:[2,2,2,2] row_mask:0xf bank_mask:0xf// 00000002A9D8: 0AF4F4FA FF00AAFA
	v_mul_f32_dpp v123, v250, v123 quad_perm:[3,3,3,3] row_mask:0xf bank_mask:0xf// 00000002A9E0: 0AF6F6FA FF00FFFA
	v_mul_f32_dpp v124, v251, v124 quad_perm:[0,0,0,0] row_mask:0xf bank_mask:0xf// 00000002A9E8: 0AF8F8FA FF0000FB
	v_mul_f32_dpp v125, v251, v125 quad_perm:[1,1,1,1] row_mask:0xf bank_mask:0xf// 00000002A9F0: 0AFAFAFA FF0055FB
	v_mul_f32_dpp v126, v251, v126 quad_perm:[2,2,2,2] row_mask:0xf bank_mask:0xf// 00000002A9F8: 0AFCFCFA FF00AAFB
	v_mul_f32_dpp v127, v251, v127 quad_perm:[3,3,3,3] row_mask:0xf bank_mask:0xf// 00000002AA00: 0AFEFEFA FF00FFFB
	s_cmp_le_i32 s90, s89                                      // 00000002AA08: BF05595A
	s_cbranch_scc1 label_A275                                  // 00000002AA0C: BF850071
	v_mov_b32_e32 v66, 0xff800000                              // 00000002AA10: 7E8402FF FF800000
	s_mov_b32 s60, s90                                         // 00000002AA18: BEBC005A
	s_add_u32 s61, s89, 0xff                                   // 00000002AA1C: 803DFF59 000000FF
	v_mov_b32_e32 v64, s61                                     // 00000002AA24: 7E80023D
	v_lshrrev_b32_e32 v240, 4, v0                              // 00000002AA28: 21E00084
	v_mul_i32_i24_e32 v240, 4, v240                            // 00000002AA2C: 0DE1E084
	v_add_u32_e32 v240, s60, v240                              // 00000002AA30: 69E1E03C
	s_mov_b32 s61, 0                                           // 00000002AA34: BEBD0080
	s_mul_i32 s60, 16, s7                                      // 00000002AA38: 923C0790
	v_sub_u32_e64 v240, v240, s61                              // 00000002AA3C: D13500F0 00007BF0
	v_add_u32_e32 v240, s60, v240                              // 00000002AA44: 69E1E03C
	v_add_u32_e32 v241, 1, v240                                // 00000002AA48: 69E3E081
	v_add_u32_e32 v242, 2, v240                                // 00000002AA4C: 69E5E082
	v_add_u32_e32 v243, 3, v240                                // 00000002AA50: 69E7E083
	v_cmp_le_u32_e64 s[40:41], v240, v64                       // 00000002AA54: D0CB0028 000281F0
	v_add_u32_e32 v240, 64, v240                               // 00000002AA5C: 69E1E0C0
	s_nop 0                                                    // 00000002AA60: BF800000
	v_cndmask_b32_e64 v112, v66, v112, s[40:41]                // 00000002AA64: D1000070 00A2E142
	v_cmp_le_u32_e64 s[40:41], v241, v64                       // 00000002AA6C: D0CB0028 000281F1
	v_add_u32_e32 v241, 64, v241                               // 00000002AA74: 69E3E2C0
	s_nop 0                                                    // 00000002AA78: BF800000
	v_cndmask_b32_e64 v113, v66, v113, s[40:41]                // 00000002AA7C: D1000071 00A2E342
	v_cmp_le_u32_e64 s[40:41], v242, v64                       // 00000002AA84: D0CB0028 000281F2
	v_add_u32_e32 v242, 64, v242                               // 00000002AA8C: 69E5E4C0
	s_nop 0                                                    // 00000002AA90: BF800000
	v_cndmask_b32_e64 v114, v66, v114, s[40:41]                // 00000002AA94: D1000072 00A2E542
	v_cmp_le_u32_e64 s[40:41], v243, v64                       // 00000002AA9C: D0CB0028 000281F3
	v_add_u32_e32 v243, 64, v243                               // 00000002AAA4: 69E7E6C0
	s_nop 0                                                    // 00000002AAA8: BF800000
	v_cndmask_b32_e64 v115, v66, v115, s[40:41]                // 00000002AAAC: D1000073 00A2E742
	v_cmp_le_u32_e64 s[40:41], v240, v64                       // 00000002AAB4: D0CB0028 000281F0
	v_add_u32_e32 v240, 64, v240                               // 00000002AABC: 69E1E0C0
	s_nop 0                                                    // 00000002AAC0: BF800000
	v_cndmask_b32_e64 v116, v66, v116, s[40:41]                // 00000002AAC4: D1000074 00A2E942
	v_cmp_le_u32_e64 s[40:41], v241, v64                       // 00000002AACC: D0CB0028 000281F1
	v_add_u32_e32 v241, 64, v241                               // 00000002AAD4: 69E3E2C0
	s_nop 0                                                    // 00000002AAD8: BF800000
	v_cndmask_b32_e64 v117, v66, v117, s[40:41]                // 00000002AADC: D1000075 00A2EB42
	v_cmp_le_u32_e64 s[40:41], v242, v64                       // 00000002AAE4: D0CB0028 000281F2
	v_add_u32_e32 v242, 64, v242                               // 00000002AAEC: 69E5E4C0
	s_nop 0                                                    // 00000002AAF0: BF800000
	v_cndmask_b32_e64 v118, v66, v118, s[40:41]                // 00000002AAF4: D1000076 00A2ED42
	v_cmp_le_u32_e64 s[40:41], v243, v64                       // 00000002AAFC: D0CB0028 000281F3
	v_add_u32_e32 v243, 64, v243                               // 00000002AB04: 69E7E6C0
	s_nop 0                                                    // 00000002AB08: BF800000
	v_cndmask_b32_e64 v119, v66, v119, s[40:41]                // 00000002AB0C: D1000077 00A2EF42
	v_cmp_le_u32_e64 s[40:41], v240, v64                       // 00000002AB14: D0CB0028 000281F0
	v_add_u32_e32 v240, 64, v240                               // 00000002AB1C: 69E1E0C0
	s_nop 0                                                    // 00000002AB20: BF800000
	v_cndmask_b32_e64 v120, v66, v120, s[40:41]                // 00000002AB24: D1000078 00A2F142
	v_cmp_le_u32_e64 s[40:41], v241, v64                       // 00000002AB2C: D0CB0028 000281F1
	v_add_u32_e32 v241, 64, v241                               // 00000002AB34: 69E3E2C0
	s_nop 0                                                    // 00000002AB38: BF800000
	v_cndmask_b32_e64 v121, v66, v121, s[40:41]                // 00000002AB3C: D1000079 00A2F342
	v_cmp_le_u32_e64 s[40:41], v242, v64                       // 00000002AB44: D0CB0028 000281F2
	v_add_u32_e32 v242, 64, v242                               // 00000002AB4C: 69E5E4C0
	s_nop 0                                                    // 00000002AB50: BF800000
	v_cndmask_b32_e64 v122, v66, v122, s[40:41]                // 00000002AB54: D100007A 00A2F542
	v_cmp_le_u32_e64 s[40:41], v243, v64                       // 00000002AB5C: D0CB0028 000281F3
	v_add_u32_e32 v243, 64, v243                               // 00000002AB64: 69E7E6C0
	s_nop 0                                                    // 00000002AB68: BF800000
	v_cndmask_b32_e64 v123, v66, v123, s[40:41]                // 00000002AB6C: D100007B 00A2F742
	v_cmp_le_u32_e64 s[40:41], v240, v64                       // 00000002AB74: D0CB0028 000281F0
	v_add_u32_e32 v240, 64, v240                               // 00000002AB7C: 69E1E0C0
	s_nop 0                                                    // 00000002AB80: BF800000
	v_cndmask_b32_e64 v124, v66, v124, s[40:41]                // 00000002AB84: D100007C 00A2F942
	v_cmp_le_u32_e64 s[40:41], v241, v64                       // 00000002AB8C: D0CB0028 000281F1
	v_add_u32_e32 v241, 64, v241                               // 00000002AB94: 69E3E2C0
	s_nop 0                                                    // 00000002AB98: BF800000
	v_cndmask_b32_e64 v125, v66, v125, s[40:41]                // 00000002AB9C: D100007D 00A2FB42
	v_cmp_le_u32_e64 s[40:41], v242, v64                       // 00000002ABA4: D0CB0028 000281F2
	v_add_u32_e32 v242, 64, v242                               // 00000002ABAC: 69E5E4C0
	s_nop 0                                                    // 00000002ABB0: BF800000
	v_cndmask_b32_e64 v126, v66, v126, s[40:41]                // 00000002ABB4: D100007E 00A2FD42
	v_cmp_le_u32_e64 s[40:41], v243, v64                       // 00000002ABBC: D0CB0028 000281F3
	v_add_u32_e32 v243, 64, v243                               // 00000002ABC4: 69E7E6C0
	s_nop 0                                                    // 00000002ABC8: BF800000
	v_cndmask_b32_e64 v127, v66, v127, s[40:41]                // 00000002ABCC: D100007F 00A2FF42

000000000002abd4 <label_A275>:
	s_and_b32 s60, s72, 0xff                                   // 00000002ABD4: 863CFF48 000000FF
	v_mov_b32_e32 v65, s60                                     // 00000002ABDC: 7E82023C
	v_lshrrev_b32_e32 v240, 4, v0                              // 00000002ABE0: 21E00084
	v_mul_i32_i24_e32 v240, 4, v240                            // 00000002ABE4: 0DE1E084
	s_mul_i32 s60, s7, 16                                      // 00000002ABE8: 923C9007
	v_add_u32_e32 v240, s60, v240                              // 00000002ABEC: 69E1E03C
	v_add_u32_e32 v241, 1, v240                                // 00000002ABF0: 69E3E081
	v_add_u32_e32 v242, 2, v240                                // 00000002ABF4: 69E5E082
	v_add_u32_e32 v243, 3, v240                                // 00000002ABF8: 69E7E083
	v_mov_b32_e32 v64, 0xff800000                              // 00000002ABFC: 7E8002FF FF800000
	v_cmp_lt_u32_e64 s[40:41], v240, v65                       // 00000002AC04: D0C90028 000283F0
	v_add_u32_e32 v240, 64, v240                               // 00000002AC0C: 69E1E0C0
	s_nop 0                                                    // 00000002AC10: BF800000
	v_cndmask_b32_e64 v112, v64, v112, s[40:41]                // 00000002AC14: D1000070 00A2E140
	v_cmp_lt_u32_e64 s[40:41], v241, v65                       // 00000002AC1C: D0C90028 000283F1
	v_add_u32_e32 v241, 64, v241                               // 00000002AC24: 69E3E2C0
	s_nop 0                                                    // 00000002AC28: BF800000
	v_cndmask_b32_e64 v113, v64, v113, s[40:41]                // 00000002AC2C: D1000071 00A2E340
	v_cmp_lt_u32_e64 s[40:41], v242, v65                       // 00000002AC34: D0C90028 000283F2
	v_add_u32_e32 v242, 64, v242                               // 00000002AC3C: 69E5E4C0
	s_nop 0                                                    // 00000002AC40: BF800000
	v_cndmask_b32_e64 v114, v64, v114, s[40:41]                // 00000002AC44: D1000072 00A2E540
	v_cmp_lt_u32_e64 s[40:41], v243, v65                       // 00000002AC4C: D0C90028 000283F3
	v_add_u32_e32 v243, 64, v243                               // 00000002AC54: 69E7E6C0
	s_nop 0                                                    // 00000002AC58: BF800000
	v_cndmask_b32_e64 v115, v64, v115, s[40:41]                // 00000002AC5C: D1000073 00A2E740
	v_cmp_lt_u32_e64 s[40:41], v240, v65                       // 00000002AC64: D0C90028 000283F0
	v_add_u32_e32 v240, 64, v240                               // 00000002AC6C: 69E1E0C0
	s_nop 0                                                    // 00000002AC70: BF800000
	v_cndmask_b32_e64 v116, v64, v116, s[40:41]                // 00000002AC74: D1000074 00A2E940
	v_cmp_lt_u32_e64 s[40:41], v241, v65                       // 00000002AC7C: D0C90028 000283F1
	v_add_u32_e32 v241, 64, v241                               // 00000002AC84: 69E3E2C0
	s_nop 0                                                    // 00000002AC88: BF800000
	v_cndmask_b32_e64 v117, v64, v117, s[40:41]                // 00000002AC8C: D1000075 00A2EB40
	v_cmp_lt_u32_e64 s[40:41], v242, v65                       // 00000002AC94: D0C90028 000283F2
	v_add_u32_e32 v242, 64, v242                               // 00000002AC9C: 69E5E4C0
	s_nop 0                                                    // 00000002ACA0: BF800000
	v_cndmask_b32_e64 v118, v64, v118, s[40:41]                // 00000002ACA4: D1000076 00A2ED40
	v_cmp_lt_u32_e64 s[40:41], v243, v65                       // 00000002ACAC: D0C90028 000283F3
	v_add_u32_e32 v243, 64, v243                               // 00000002ACB4: 69E7E6C0
	s_nop 0                                                    // 00000002ACB8: BF800000
	v_cndmask_b32_e64 v119, v64, v119, s[40:41]                // 00000002ACBC: D1000077 00A2EF40
	v_cmp_lt_u32_e64 s[40:41], v240, v65                       // 00000002ACC4: D0C90028 000283F0
	v_add_u32_e32 v240, 64, v240                               // 00000002ACCC: 69E1E0C0
	s_nop 0                                                    // 00000002ACD0: BF800000
	v_cndmask_b32_e64 v120, v64, v120, s[40:41]                // 00000002ACD4: D1000078 00A2F140
	v_cmp_lt_u32_e64 s[40:41], v241, v65                       // 00000002ACDC: D0C90028 000283F1
	v_add_u32_e32 v241, 64, v241                               // 00000002ACE4: 69E3E2C0
	s_nop 0                                                    // 00000002ACE8: BF800000
	v_cndmask_b32_e64 v121, v64, v121, s[40:41]                // 00000002ACEC: D1000079 00A2F340
	v_cmp_lt_u32_e64 s[40:41], v242, v65                       // 00000002ACF4: D0C90028 000283F2
	v_add_u32_e32 v242, 64, v242                               // 00000002ACFC: 69E5E4C0
	s_nop 0                                                    // 00000002AD00: BF800000
	v_cndmask_b32_e64 v122, v64, v122, s[40:41]                // 00000002AD04: D100007A 00A2F540
	v_cmp_lt_u32_e64 s[40:41], v243, v65                       // 00000002AD0C: D0C90028 000283F3
	v_add_u32_e32 v243, 64, v243                               // 00000002AD14: 69E7E6C0
	s_nop 0                                                    // 00000002AD18: BF800000
	v_cndmask_b32_e64 v123, v64, v123, s[40:41]                // 00000002AD1C: D100007B 00A2F740
	v_cmp_lt_u32_e64 s[40:41], v240, v65                       // 00000002AD24: D0C90028 000283F0
	v_add_u32_e32 v240, 64, v240                               // 00000002AD2C: 69E1E0C0
	s_nop 0                                                    // 00000002AD30: BF800000
	v_cndmask_b32_e64 v124, v64, v124, s[40:41]                // 00000002AD34: D100007C 00A2F940
	v_cmp_lt_u32_e64 s[40:41], v241, v65                       // 00000002AD3C: D0C90028 000283F1
	v_add_u32_e32 v241, 64, v241                               // 00000002AD44: 69E3E2C0
	s_nop 0                                                    // 00000002AD48: BF800000
	v_cndmask_b32_e64 v125, v64, v125, s[40:41]                // 00000002AD4C: D100007D 00A2FB40
	v_cmp_lt_u32_e64 s[40:41], v242, v65                       // 00000002AD54: D0C90028 000283F2
	v_add_u32_e32 v242, 64, v242                               // 00000002AD5C: 69E5E4C0
	s_nop 0                                                    // 00000002AD60: BF800000
	v_cndmask_b32_e64 v126, v64, v126, s[40:41]                // 00000002AD64: D100007E 00A2FD40
	v_cmp_lt_u32_e64 s[40:41], v243, v65                       // 00000002AD6C: D0C90028 000283F3
	v_add_u32_e32 v243, 64, v243                               // 00000002AD74: 69E7E6C0
	s_nop 0                                                    // 00000002AD78: BF800000
	v_cndmask_b32_e64 v127, v64, v127, s[40:41]                // 00000002AD7C: D100007F 00A2FF40
	v_mov_b32_e32 v48, v112                                    // 00000002AD84: 7E600370
	v_max3_f32 v48, v112, v113, v48                            // 00000002AD88: D1D30030 04C2E370
	v_max3_f32 v48, v114, v115, v48                            // 00000002AD90: D1D30030 04C2E772
	v_max3_f32 v48, v116, v117, v48                            // 00000002AD98: D1D30030 04C2EB74
	v_max3_f32 v48, v118, v119, v48                            // 00000002ADA0: D1D30030 04C2EF76
	v_max3_f32 v48, v120, v121, v48                            // 00000002ADA8: D1D30030 04C2F378
	v_max3_f32 v48, v122, v123, v48                            // 00000002ADB0: D1D30030 04C2F77A
	v_max3_f32 v48, v124, v125, v48                            // 00000002ADB8: D1D30030 04C2FB7C
	v_max3_f32 v48, v126, v127, v48                            // 00000002ADC0: D1D30030 04C2FF7E
	ds_write_b32 v8, v48 offset:16896                          // 00000002ADC8: D81A4200 00003008
	v_mul_u32_u24_dpp v64, v17, v54 row_newbcast:1 row_mask:0xf bank_mask:0xf// 00000002ADD0: 10806CFA FF015111
	v_mul_u32_u24_dpp v65, v17, v54 row_newbcast:5 row_mask:0xf bank_mask:0xf// 00000002ADD8: 10826CFA FF015511
	v_mul_u32_u24_dpp v66, v17, v54 row_newbcast:9 row_mask:0xf bank_mask:0xf// 00000002ADE0: 10846CFA FF015911
	v_mul_u32_u24_dpp v67, v17, v54 row_newbcast:13 row_mask:0xf bank_mask:0xf// 00000002ADE8: 10866CFA FF015D11
	v_add_u32_e32 v34, v64, v6                                 // 00000002ADF0: 68440D40
	v_add_u32_e32 v35, v65, v6                                 // 00000002ADF4: 68460D41
	v_add_u32_e32 v36, v66, v6                                 // 00000002ADF8: 68480D42
	v_add_u32_e32 v37, v67, v6                                 // 00000002ADFC: 684A0D43
	v_mul_f32_e32 v208, v49, v208                              // 00000002AE00: 0BA1A131
	v_mul_f32_e32 v209, v49, v209                              // 00000002AE04: 0BA3A331
	v_mul_f32_e32 v210, v49, v210                              // 00000002AE08: 0BA5A531
	v_mul_f32_e32 v211, v49, v211                              // 00000002AE0C: 0BA7A731
	v_mul_f32_e32 v212, v49, v212                              // 00000002AE10: 0BA9A931
	v_mul_f32_e32 v213, v49, v213                              // 00000002AE14: 0BABAB31
	v_mul_f32_e32 v214, v49, v214                              // 00000002AE18: 0BADAD31
	v_mul_f32_e32 v215, v49, v215                              // 00000002AE1C: 0BAFAF31
	s_waitcnt lgkmcnt(0)                                       // 00000002AE20: BF8CC07F
	s_barrier                                                  // 00000002AE24: BF8A0000
	ds_read_b32 v64, v7 offset:16896                           // 00000002AE28: D86C4200 40000007
	ds_read_b32 v65, v7 offset:16960                           // 00000002AE30: D86C4240 41000007
	ds_read_b32 v66, v7 offset:17024                           // 00000002AE38: D86C4280 42000007
	ds_read_b32 v67, v7 offset:17088                           // 00000002AE40: D86C42C0 43000007
	ds_read_b32 v68, v7 offset:17152                           // 00000002AE48: D86C4300 44000007
	ds_read_b32 v69, v7 offset:17216                           // 00000002AE50: D86C4340 45000007
	ds_read_b32 v70, v7 offset:17280                           // 00000002AE58: D86C4380 46000007
	ds_read_b32 v71, v7 offset:17344                           // 00000002AE60: D86C43C0 47000007
	ds_read_b32 v72, v7 offset:17408                           // 00000002AE68: D86C4400 48000007
	ds_read_b32 v73, v7 offset:17472                           // 00000002AE70: D86C4440 49000007
	ds_read_b32 v74, v7 offset:17536                           // 00000002AE78: D86C4480 4A000007
	ds_read_b32 v75, v7 offset:17600                           // 00000002AE80: D86C44C0 4B000007
	ds_read_b32 v76, v7 offset:17664                           // 00000002AE88: D86C4500 4C000007
	ds_read_b32 v77, v7 offset:17728                           // 00000002AE90: D86C4540 4D000007
	ds_read_b32 v78, v7 offset:17792                           // 00000002AE98: D86C4580 4E000007
	ds_read_b32 v79, v7 offset:17856                           // 00000002AEA0: D86C45C0 4F000007
	v_cvt_f32_i32_e32 v176, v176                               // 00000002AEA8: 7F600BB0
	v_cvt_f32_i32_e32 v177, v177                               // 00000002AEAC: 7F620BB1
	v_cvt_f32_i32_e32 v178, v178                               // 00000002AEB0: 7F640BB2
	v_cvt_f32_i32_e32 v179, v179                               // 00000002AEB4: 7F660BB3
	v_cvt_f32_i32_e32 v180, v180                               // 00000002AEB8: 7F680BB4
	v_cvt_f32_i32_e32 v181, v181                               // 00000002AEBC: 7F6A0BB5
	v_cvt_f32_i32_e32 v182, v182                               // 00000002AEC0: 7F6C0BB6
	v_cvt_f32_i32_e32 v183, v183                               // 00000002AEC4: 7F6E0BB7
	v_mul_f32_e32 v176, v44, v176                              // 00000002AEC8: 0B61612C
	v_mul_f32_e32 v177, v44, v177                              // 00000002AECC: 0B63632C
	v_mul_f32_e32 v178, v44, v178                              // 00000002AED0: 0B65652C
	v_mul_f32_e32 v179, v44, v179                              // 00000002AED4: 0B67672C
	v_mul_f32_e32 v180, v44, v180                              // 00000002AED8: 0B69692C
	v_mul_f32_e32 v181, v44, v181                              // 00000002AEDC: 0B6B6B2C
	v_mul_f32_e32 v182, v44, v182                              // 00000002AEE0: 0B6D6D2C
	v_mul_f32_e32 v183, v44, v183                              // 00000002AEE4: 0B6F6F2C
	s_waitcnt lgkmcnt(0)                                       // 00000002AEE8: BF8CC07F
	v_max3_f32 v48, v64, v65, v48                              // 00000002AEEC: D1D30030 04C28340
	v_max3_f32 v48, v66, v67, v48                              // 00000002AEF4: D1D30030 04C28742
	v_max3_f32 v48, v68, v69, v48                              // 00000002AEFC: D1D30030 04C28B44
	v_max3_f32 v48, v70, v71, v48                              // 00000002AF04: D1D30030 04C28F46
	v_max3_f32 v48, v72, v73, v48                              // 00000002AF0C: D1D30030 04C29348
	v_max3_f32 v48, v74, v75, v48                              // 00000002AF14: D1D30030 04C2974A
	v_max3_f32 v48, v76, v77, v48                              // 00000002AF1C: D1D30030 04C29B4C
	v_max3_f32 v48, v78, v79, v48                              // 00000002AF24: D1D30030 04C29F4E
	v_mov_b32_e32 v64, 0xff800000                              // 00000002AF2C: 7E8002FF FF800000
	v_cmp_eq_u32_e64 s[40:41], v64, v11                        // 00000002AF34: D0CA0028 00021740
	s_nop 1                                                    // 00000002AF3C: BF800001
	v_max_f32_e32 v15, v48, v11                                // 00000002AF40: 161E1730
	v_mul_f32_e32 v53, s64, v15                                // 00000002AF44: 0A6A1E40
	v_fma_f32 v112, v112, s64, -v53                            // 00000002AF48: D1CB0070 84D48170
	v_fma_f32 v113, v113, s64, -v53                            // 00000002AF50: D1CB0071 84D48171
	v_fma_f32 v114, v114, s64, -v53                            // 00000002AF58: D1CB0072 84D48172
	v_fma_f32 v115, v115, s64, -v53                            // 00000002AF60: D1CB0073 84D48173
	v_fma_f32 v116, v116, s64, -v53                            // 00000002AF68: D1CB0074 84D48174
	v_fma_f32 v117, v117, s64, -v53                            // 00000002AF70: D1CB0075 84D48175
	v_fma_f32 v118, v118, s64, -v53                            // 00000002AF78: D1CB0076 84D48176
	v_fma_f32 v119, v119, s64, -v53                            // 00000002AF80: D1CB0077 84D48177
	v_fma_f32 v120, v120, s64, -v53                            // 00000002AF88: D1CB0078 84D48178
	v_fma_f32 v121, v121, s64, -v53                            // 00000002AF90: D1CB0079 84D48179
	v_fma_f32 v122, v122, s64, -v53                            // 00000002AF98: D1CB007A 84D4817A
	v_fma_f32 v123, v123, s64, -v53                            // 00000002AFA0: D1CB007B 84D4817B
	v_fma_f32 v124, v124, s64, -v53                            // 00000002AFA8: D1CB007C 84D4817C
	v_fma_f32 v125, v125, s64, -v53                            // 00000002AFB0: D1CB007D 84D4817D
	v_fma_f32 v126, v126, s64, -v53                            // 00000002AFB8: D1CB007E 84D4817E
	v_fma_f32 v127, v127, s64, -v53                            // 00000002AFC0: D1CB007F 84D4817F
	v_exp_f32_e32 v112, v112                                   // 00000002AFC8: 7EE04170
	v_exp_f32_e32 v113, v113                                   // 00000002AFCC: 7EE24171
	v_exp_f32_e32 v114, v114                                   // 00000002AFD0: 7EE44172
	v_exp_f32_e32 v115, v115                                   // 00000002AFD4: 7EE64173
	v_exp_f32_e32 v116, v116                                   // 00000002AFD8: 7EE84174
	v_exp_f32_e32 v117, v117                                   // 00000002AFDC: 7EEA4175
	v_exp_f32_e32 v118, v118                                   // 00000002AFE0: 7EEC4176
	v_exp_f32_e32 v119, v119                                   // 00000002AFE4: 7EEE4177
	v_exp_f32_e32 v120, v120                                   // 00000002AFE8: 7EF04178
	v_exp_f32_e32 v121, v121                                   // 00000002AFEC: 7EF24179
	v_exp_f32_e32 v122, v122                                   // 00000002AFF0: 7EF4417A
	v_exp_f32_e32 v123, v123                                   // 00000002AFF4: 7EF6417B
	v_exp_f32_e32 v124, v124                                   // 00000002AFF8: 7EF8417C
	v_exp_f32_e32 v125, v125                                   // 00000002AFFC: 7EFA417D
	v_exp_f32_e32 v126, v126                                   // 00000002B000: 7EFC417E
	v_exp_f32_e32 v127, v127                                   // 00000002B004: 7EFE417F
	v_mul_f32_dpp v240, v252, v112 quad_perm:[0,0,0,0] row_mask:0xf bank_mask:0xf// 00000002B008: 0BE0E0FA FF0000FC
	v_mul_f32_dpp v241, v252, v113 quad_perm:[1,1,1,1] row_mask:0xf bank_mask:0xf// 00000002B010: 0BE2E2FA FF0055FC
	v_mul_f32_dpp v242, v252, v114 quad_perm:[2,2,2,2] row_mask:0xf bank_mask:0xf// 00000002B018: 0BE4E4FA FF00AAFC
	v_mul_f32_dpp v243, v252, v115 quad_perm:[3,3,3,3] row_mask:0xf bank_mask:0xf// 00000002B020: 0BE6E6FA FF00FFFC
	v_mul_f32_dpp v244, v253, v116 quad_perm:[0,0,0,0] row_mask:0xf bank_mask:0xf// 00000002B028: 0BE8E8FA FF0000FD
	v_mul_f32_dpp v245, v253, v117 quad_perm:[1,1,1,1] row_mask:0xf bank_mask:0xf// 00000002B030: 0BEAEAFA FF0055FD
	v_mul_f32_dpp v246, v253, v118 quad_perm:[2,2,2,2] row_mask:0xf bank_mask:0xf// 00000002B038: 0BECECFA FF00AAFD
	v_mul_f32_dpp v247, v253, v119 quad_perm:[3,3,3,3] row_mask:0xf bank_mask:0xf// 00000002B040: 0BEEEEFA FF00FFFD
	v_mul_f32_dpp v248, v254, v120 quad_perm:[0,0,0,0] row_mask:0xf bank_mask:0xf// 00000002B048: 0BF0F0FA FF0000FE
	v_mul_f32_dpp v249, v254, v121 quad_perm:[1,1,1,1] row_mask:0xf bank_mask:0xf// 00000002B050: 0BF2F2FA FF0055FE
	v_mul_f32_dpp v250, v254, v122 quad_perm:[2,2,2,2] row_mask:0xf bank_mask:0xf// 00000002B058: 0BF4F4FA FF00AAFE
	v_mul_f32_dpp v251, v254, v123 quad_perm:[3,3,3,3] row_mask:0xf bank_mask:0xf// 00000002B060: 0BF6F6FA FF00FFFE
	v_mul_f32_dpp v252, v255, v124 quad_perm:[0,0,0,0] row_mask:0xf bank_mask:0xf// 00000002B068: 0BF8F8FA FF0000FF
	v_mul_f32_dpp v253, v255, v125 quad_perm:[1,1,1,1] row_mask:0xf bank_mask:0xf// 00000002B070: 0BFAFAFA FF0055FF
	v_mul_f32_dpp v254, v255, v126 quad_perm:[2,2,2,2] row_mask:0xf bank_mask:0xf// 00000002B078: 0BFCFCFA FF00AAFF
	v_mul_f32_dpp v255, v255, v127 quad_perm:[3,3,3,3] row_mask:0xf bank_mask:0xf// 00000002B080: 0BFEFEFA FF00FFFF
	v_mov_b32_e32 v48, 0x358637bd                              // 00000002B088: 7E6002FF 358637BD
	v_max3_f32 v48, |v240|, |v241|, v48                        // 00000002B090: D1D30330 04C3E3F0
	v_max3_f32 v48, |v242|, |v243|, v48                        // 00000002B098: D1D30330 04C3E7F2
	v_max3_f32 v48, |v244|, |v245|, v48                        // 00000002B0A0: D1D30330 04C3EBF4
	v_max3_f32 v48, |v246|, |v247|, v48                        // 00000002B0A8: D1D30330 04C3EFF6
	v_max3_f32 v48, |v248|, |v249|, v48                        // 00000002B0B0: D1D30330 04C3F3F8
	v_max3_f32 v48, |v250|, |v251|, v48                        // 00000002B0B8: D1D30330 04C3F7FA
	v_max3_f32 v48, |v252|, |v253|, v48                        // 00000002B0C0: D1D30330 04C3FBFC
	v_max3_f32 v48, |v254|, |v255|, v48                        // 00000002B0C8: D1D30330 04C3FFFE
	ds_write_b32 v8, v48 offset:20992                          // 00000002B0D0: D81A5200 00003008
	v_sub_f32_e32 v49, v11, v15                                // 00000002B0D8: 04621F0B
	v_cndmask_b32_e64 v49, v49, 0, s[40:41]                    // 00000002B0DC: D1000031 00A10131
	v_mov_b32_e32 v11, v15                                     // 00000002B0E4: 7E16030F
	v_mul_f32_e32 v49, s64, v49                                // 00000002B0E8: 0A626240
	v_exp_f32_e32 v49, v49                                     // 00000002B0EC: 7E624131
	s_waitcnt lgkmcnt(0)                                       // 00000002B0F0: BF8CC07F
	s_barrier                                                  // 00000002B0F4: BF8A0000
	ds_read_b32 v64, v7 offset:20992                           // 00000002B0F8: D86C5200 40000007
	ds_read_b32 v65, v7 offset:21056                           // 00000002B100: D86C5240 41000007
	ds_read_b32 v66, v7 offset:21120                           // 00000002B108: D86C5280 42000007
	ds_read_b32 v67, v7 offset:21184                           // 00000002B110: D86C52C0 43000007
	ds_read_b32 v68, v7 offset:21248                           // 00000002B118: D86C5300 44000007
	ds_read_b32 v69, v7 offset:21312                           // 00000002B120: D86C5340 45000007
	ds_read_b32 v70, v7 offset:21376                           // 00000002B128: D86C5380 46000007
	ds_read_b32 v71, v7 offset:21440                           // 00000002B130: D86C53C0 47000007
	ds_read_b32 v72, v7 offset:21504                           // 00000002B138: D86C5400 48000007
	ds_read_b32 v73, v7 offset:21568                           // 00000002B140: D86C5440 49000007
	ds_read_b32 v74, v7 offset:21632                           // 00000002B148: D86C5480 4A000007
	ds_read_b32 v75, v7 offset:21696                           // 00000002B150: D86C54C0 4B000007
	ds_read_b32 v76, v7 offset:21760                           // 00000002B158: D86C5500 4C000007
	ds_read_b32 v77, v7 offset:21824                           // 00000002B160: D86C5540 4D000007
	ds_read_b32 v78, v7 offset:21888                           // 00000002B168: D86C5580 4E000007
	ds_read_b32 v79, v7 offset:21952                           // 00000002B170: D86C55C0 4F000007
	v_mul_f32_e32 v38, v49, v38                                // 00000002B178: 0A4C4D31
	v_mov_b32_e32 v15, v112                                    // 00000002B17C: 7E1E0370
	v_add_f32_e32 v15, v113, v15                               // 00000002B180: 021E1F71
	v_add_f32_e32 v15, v114, v15                               // 00000002B184: 021E1F72
	v_add_f32_e32 v15, v115, v15                               // 00000002B188: 021E1F73
	v_add_f32_e32 v15, v116, v15                               // 00000002B18C: 021E1F74
	v_add_f32_e32 v15, v117, v15                               // 00000002B190: 021E1F75
	v_add_f32_e32 v15, v118, v15                               // 00000002B194: 021E1F76
	v_add_f32_e32 v15, v119, v15                               // 00000002B198: 021E1F77
	v_add_f32_e32 v15, v120, v15                               // 00000002B19C: 021E1F78
	v_add_f32_e32 v15, v121, v15                               // 00000002B1A0: 021E1F79
	v_add_f32_e32 v15, v122, v15                               // 00000002B1A4: 021E1F7A
	v_add_f32_e32 v15, v123, v15                               // 00000002B1A8: 021E1F7B
	v_add_f32_e32 v15, v124, v15                               // 00000002B1AC: 021E1F7C
	v_add_f32_e32 v15, v125, v15                               // 00000002B1B0: 021E1F7D
	v_add_f32_e32 v15, v126, v15                               // 00000002B1B4: 021E1F7E
	v_add_f32_e32 v15, v127, v15                               // 00000002B1B8: 021E1F7F
	v_add_f32_e32 v38, v15, v38                                // 00000002B1BC: 024C4D0F
	s_waitcnt lgkmcnt(0)                                       // 00000002B1C0: BF8CC07F
	v_max3_f32 v48, |v64|, |v65|, v48                          // 00000002B1C4: D1D30330 04C28340
	v_max3_f32 v48, |v66|, |v67|, v48                          // 00000002B1CC: D1D30330 04C28742
	v_max3_f32 v48, |v68|, |v69|, v48                          // 00000002B1D4: D1D30330 04C28B44
	v_max3_f32 v48, |v70|, |v71|, v48                          // 00000002B1DC: D1D30330 04C28F46
	v_max3_f32 v48, |v72|, |v73|, v48                          // 00000002B1E4: D1D30330 04C29348
	v_max3_f32 v48, |v74|, |v75|, v48                          // 00000002B1EC: D1D30330 04C2974A
	v_max3_f32 v48, |v76|, |v77|, v48                          // 00000002B1F4: D1D30330 04C29B4C
	v_max3_f32 v48, |v78|, |v79|, v48                          // 00000002B1FC: D1D30330 04C29F4E
	s_nop 2                                                    // 00000002B204: BF800002
	v_rcp_f32_e32 v48, v48                                     // 00000002B208: 7E604530
	s_nop 1                                                    // 00000002B20C: BF800001
	v_mul_f32_e32 v48, 0x42fe0000, v48                         // 00000002B210: 0A6060FF 42FE0000
	v_mul_f32_e32 v112, v48, v240                              // 00000002B218: 0AE1E130
	v_mul_f32_e32 v113, v48, v241                              // 00000002B21C: 0AE3E330
	v_mul_f32_e32 v114, v48, v242                              // 00000002B220: 0AE5E530
	v_mul_f32_e32 v115, v48, v243                              // 00000002B224: 0AE7E730
	v_mul_f32_e32 v116, v48, v244                              // 00000002B228: 0AE9E930
	v_mul_f32_e32 v117, v48, v245                              // 00000002B22C: 0AEBEB30
	v_mul_f32_e32 v118, v48, v246                              // 00000002B230: 0AEDED30
	v_mul_f32_e32 v119, v48, v247                              // 00000002B234: 0AEFEF30
	v_mul_f32_e32 v120, v48, v248                              // 00000002B238: 0AF1F130
	v_mul_f32_e32 v121, v48, v249                              // 00000002B23C: 0AF3F330
	v_mul_f32_e32 v122, v48, v250                              // 00000002B240: 0AF5F530
	v_mul_f32_e32 v123, v48, v251                              // 00000002B244: 0AF7F730
	v_mul_f32_e32 v124, v48, v252                              // 00000002B248: 0AF9F930
	v_mul_f32_e32 v125, v48, v253                              // 00000002B24C: 0AFBFB30
	v_mul_f32_e32 v126, v48, v254                              // 00000002B250: 0AFDFD30
	v_mul_f32_e32 v127, v48, v255                              // 00000002B254: 0AFFFF30
	v_cvt_i32_f32_e32 v112, v112                               // 00000002B258: 7EE01170
	v_cvt_i32_f32_e32 v113, v113                               // 00000002B25C: 7EE21171
	v_cvt_i32_f32_e32 v114, v114                               // 00000002B260: 7EE41172
	v_cvt_i32_f32_e32 v115, v115                               // 00000002B264: 7EE61173
	v_cvt_i32_f32_e32 v116, v116                               // 00000002B268: 7EE81174
	v_cvt_i32_f32_e32 v117, v117                               // 00000002B26C: 7EEA1175
	v_cvt_i32_f32_e32 v118, v118                               // 00000002B270: 7EEC1176
	v_cvt_i32_f32_e32 v119, v119                               // 00000002B274: 7EEE1177
	v_cvt_i32_f32_e32 v120, v120                               // 00000002B278: 7EF01178
	v_cvt_i32_f32_e32 v121, v121                               // 00000002B27C: 7EF21179
	v_cvt_i32_f32_e32 v122, v122                               // 00000002B280: 7EF4117A
	v_cvt_i32_f32_e32 v123, v123                               // 00000002B284: 7EF6117B
	v_cvt_i32_f32_e32 v124, v124                               // 00000002B288: 7EF8117C
	v_cvt_i32_f32_e32 v125, v125                               // 00000002B28C: 7EFA117D
	v_cvt_i32_f32_e32 v126, v126                               // 00000002B290: 7EFC117E
	v_cvt_i32_f32_e32 v127, v127                               // 00000002B294: 7EFE117F
	v_perm_b32 v112, v113, v112, s53                           // 00000002B298: D1ED0070 00D6E171
	v_perm_b32 v112, v114, v112, s54                           // 00000002B2A0: D1ED0070 00DAE172
	v_perm_b32 v112, v115, v112, s55                           // 00000002B2A8: D1ED0070 00DEE173
	v_perm_b32 v113, v117, v116, s53                           // 00000002B2B0: D1ED0071 00D6E975
	v_perm_b32 v113, v118, v113, s54                           // 00000002B2B8: D1ED0071 00DAE376
	v_perm_b32 v113, v119, v113, s55                           // 00000002B2C0: D1ED0071 00DEE377
	v_perm_b32 v114, v121, v120, s53                           // 00000002B2C8: D1ED0072 00D6F179
	v_perm_b32 v114, v122, v114, s54                           // 00000002B2D0: D1ED0072 00DAE57A
	v_perm_b32 v114, v123, v114, s55                           // 00000002B2D8: D1ED0072 00DEE57B
	v_perm_b32 v115, v125, v124, s53                           // 00000002B2E0: D1ED0073 00D6F97D
	v_perm_b32 v115, v126, v115, s54                           // 00000002B2E8: D1ED0073 00DAE77E
	v_perm_b32 v115, v127, v115, s55                           // 00000002B2F0: D1ED0073 00DEE77F
	ds_write_b32 v10, v112 offset:25088                        // 00000002B2F8: D81A6200 0000700A
	ds_write_b32 v10, v113 offset:26112                        // 00000002B300: D81A6600 0000710A
	ds_write_b32 v10, v114 offset:27136                        // 00000002B308: D81A6A00 0000720A
	ds_write_b32 v10, v115 offset:28160                        // 00000002B310: D81A6E00 0000730A
	v_add_f32_e32 v208, v208, v176                             // 00000002B318: 03A161D0
	v_add_f32_e32 v209, v209, v177                             // 00000002B31C: 03A363D1
	v_add_f32_e32 v210, v210, v178                             // 00000002B320: 03A565D2
	v_add_f32_e32 v211, v211, v179                             // 00000002B324: 03A767D3
	v_add_f32_e32 v212, v212, v180                             // 00000002B328: 03A969D4
	v_add_f32_e32 v213, v213, v181                             // 00000002B32C: 03AB6BD5
	v_add_f32_e32 v214, v214, v182                             // 00000002B330: 03AD6DD6
	v_add_f32_e32 v215, v215, v183                             // 00000002B334: 03AF6FD7
	v_rcp_f32_e32 v44, v48                                     // 00000002B338: 7E584530
	s_waitcnt lgkmcnt(0)                                       // 00000002B33C: BF8CC07F
	s_barrier                                                  // 00000002B340: BF8A0000
	ds_read_b64 v[112:113], v9 offset:25088                    // 00000002B344: D8EC6200 70000009
	ds_read_b64 v[114:115], v9 offset:25216                    // 00000002B34C: D8EC6280 72000009
	ds_read_b64 v[116:117], v9 offset:26112                    // 00000002B354: D8EC6600 74000009
	ds_read_b64 v[118:119], v9 offset:26240                    // 00000002B35C: D8EC6680 76000009
	ds_read_b64 v[120:121], v9 offset:27136                    // 00000002B364: D8EC6A00 78000009
	ds_read_b64 v[122:123], v9 offset:27264                    // 00000002B36C: D8EC6A80 7A000009
	ds_read_b64 v[124:125], v9 offset:28160                    // 00000002B374: D8EC6E00 7C000009
	ds_read_b64 v[126:127], v9 offset:28288                    // 00000002B37C: D8EC6E80 7E000009
	v_mov_b32_dpp v64, v42 row_shr:4 row_mask:0xf bank_mask:0xf// 00000002B384: 7E8002FA FF01142A
	v_mov_b32_dpp v65, v42 row_shl:4 row_mask:0xf bank_mask:0xf// 00000002B38C: 7E8202FA FF01042A
	v_cndmask_b32_e64 v248, v42, v64, s[44:45]                 // 00000002B394: D10000F8 00B2812A
	v_cndmask_b32_e64 v249, v65, v42, s[44:45]                 // 00000002B39C: D10000F9 00B25541
	v_mov_b32_dpp v64, v248 row_shr:8 row_mask:0xf bank_mask:0xf// 00000002B3A4: 7E8002FA FF0118F8
	v_mov_b32_dpp v65, v248 row_shl:8 row_mask:0xf bank_mask:0xf// 00000002B3AC: 7E8202FA FF0108F8
	v_mov_b32_dpp v66, v249 row_shr:8 row_mask:0xf bank_mask:0xf// 00000002B3B4: 7E8402FA FF0118F9
	v_mov_b32_dpp v67, v249 row_shl:8 row_mask:0xf bank_mask:0xf// 00000002B3BC: 7E8602FA FF0108F9
	v_mov_b32_e32 v68, v248                                    // 00000002B3C4: 7E8803F8
	v_mov_b32_e32 v69, v249                                    // 00000002B3C8: 7E8A03F9
	v_cndmask_b32_e64 v248, v68, v64, s[42:43]                 // 00000002B3CC: D10000F8 00AA8144
	v_cndmask_b32_e64 v250, v68, v65, s[78:79]                 // 00000002B3D4: D10000FA 013A8344
	v_cndmask_b32_e64 v249, v69, v66, s[42:43]                 // 00000002B3DC: D10000F9 00AA8545
	v_cndmask_b32_e64 v251, v69, v67, s[78:79]                 // 00000002B3E4: D10000FB 013A8745
	v_mov_b32_dpp v64, v57 row_shr:4 row_mask:0xf bank_mask:0xf// 00000002B3EC: 7E8002FA FF011439
	v_mov_b32_dpp v65, v57 row_shl:4 row_mask:0xf bank_mask:0xf// 00000002B3F4: 7E8202FA FF010439
	v_cndmask_b32_e64 v252, v57, v64, s[44:45]                 // 00000002B3FC: D10000FC 00B28139
	v_cndmask_b32_e64 v253, v65, v57, s[44:45]                 // 00000002B404: D10000FD 00B27341
	v_mov_b32_dpp v64, v252 row_shr:8 row_mask:0xf bank_mask:0xf// 00000002B40C: 7E8002FA FF0118FC
	v_mov_b32_dpp v65, v252 row_shl:8 row_mask:0xf bank_mask:0xf// 00000002B414: 7E8202FA FF0108FC
	v_mov_b32_dpp v66, v253 row_shr:8 row_mask:0xf bank_mask:0xf// 00000002B41C: 7E8402FA FF0118FD
	v_mov_b32_dpp v67, v253 row_shl:8 row_mask:0xf bank_mask:0xf// 00000002B424: 7E8602FA FF0108FD
	v_mov_b32_e32 v68, v252                                    // 00000002B42C: 7E8803FC
	v_mov_b32_e32 v69, v253                                    // 00000002B430: 7E8A03FD
	v_cndmask_b32_e64 v252, v68, v64, s[42:43]                 // 00000002B434: D10000FC 00AA8144
	v_cndmask_b32_e64 v254, v68, v65, s[78:79]                 // 00000002B43C: D10000FE 013A8344
	v_cndmask_b32_e64 v253, v69, v66, s[42:43]                 // 00000002B444: D10000FD 00AA8545
	v_cndmask_b32_e64 v255, v69, v67, s[78:79]                 // 00000002B44C: D10000FF 013A8745
	v_cvt_f32_i32_e32 v128, v128                               // 00000002B454: 7F000B80
	v_cvt_f32_i32_e32 v129, v129                               // 00000002B458: 7F020B81
	v_cvt_f32_i32_e32 v130, v130                               // 00000002B45C: 7F040B82
	v_cvt_f32_i32_e32 v131, v131                               // 00000002B460: 7F060B83
	v_cvt_f32_i32_e32 v132, v132                               // 00000002B464: 7F080B84
	v_cvt_f32_i32_e32 v133, v133                               // 00000002B468: 7F0A0B85
	v_cvt_f32_i32_e32 v134, v134                               // 00000002B46C: 7F0C0B86
	v_cvt_f32_i32_e32 v135, v135                               // 00000002B470: 7F0E0B87
	v_cvt_f32_i32_e32 v136, v136                               // 00000002B474: 7F100B88
	v_cvt_f32_i32_e32 v137, v137                               // 00000002B478: 7F120B89
	v_cvt_f32_i32_e32 v138, v138                               // 00000002B47C: 7F140B8A
	v_cvt_f32_i32_e32 v139, v139                               // 00000002B480: 7F160B8B
	v_cvt_f32_i32_e32 v140, v140                               // 00000002B484: 7F180B8C
	v_cvt_f32_i32_e32 v141, v141                               // 00000002B488: 7F1A0B8D
	v_cvt_f32_i32_e32 v142, v142                               // 00000002B48C: 7F1C0B8E
	v_cvt_f32_i32_e32 v143, v143                               // 00000002B490: 7F1E0B8F
	v_mul_f32_e32 v128, v19, v128                              // 00000002B494: 0B010113
	v_mul_f32_e32 v129, v19, v129                              // 00000002B498: 0B030313
	v_mul_f32_e32 v130, v19, v130                              // 00000002B49C: 0B050513
	v_mul_f32_e32 v131, v19, v131                              // 00000002B4A0: 0B070713
	v_mul_f32_e32 v132, v19, v132                              // 00000002B4A4: 0B090913
	v_mul_f32_e32 v133, v19, v133                              // 00000002B4A8: 0B0B0B13
	v_mul_f32_e32 v134, v19, v134                              // 00000002B4AC: 0B0D0D13
	v_mul_f32_e32 v135, v19, v135                              // 00000002B4B0: 0B0F0F13
	v_mul_f32_e32 v136, v19, v136                              // 00000002B4B4: 0B111113
	v_mul_f32_e32 v137, v19, v137                              // 00000002B4B8: 0B131313
	v_mul_f32_e32 v138, v19, v138                              // 00000002B4BC: 0B151513
	v_mul_f32_e32 v139, v19, v139                              // 00000002B4C0: 0B171713
	v_mul_f32_e32 v140, v19, v140                              // 00000002B4C4: 0B191913
	v_mul_f32_e32 v141, v19, v141                              // 00000002B4C8: 0B1B1B13
	v_mul_f32_e32 v142, v19, v142                              // 00000002B4CC: 0B1D1D13
	v_mul_f32_e32 v143, v19, v143                              // 00000002B4D0: 0B1F1F13
	v_mul_f32_dpp v128, v248, v128 quad_perm:[0,0,0,0] row_mask:0xf bank_mask:0xf// 00000002B4D4: 0B0100FA FF0000F8
	v_mul_f32_dpp v129, v248, v129 quad_perm:[1,1,1,1] row_mask:0xf bank_mask:0xf// 00000002B4DC: 0B0302FA FF0055F8
	v_mul_f32_dpp v130, v248, v130 quad_perm:[2,2,2,2] row_mask:0xf bank_mask:0xf// 00000002B4E4: 0B0504FA FF00AAF8
	v_mul_f32_dpp v131, v248, v131 quad_perm:[3,3,3,3] row_mask:0xf bank_mask:0xf// 00000002B4EC: 0B0706FA FF00FFF8
	v_mul_f32_dpp v132, v249, v132 quad_perm:[0,0,0,0] row_mask:0xf bank_mask:0xf// 00000002B4F4: 0B0908FA FF0000F9
	v_mul_f32_dpp v133, v249, v133 quad_perm:[1,1,1,1] row_mask:0xf bank_mask:0xf// 00000002B4FC: 0B0B0AFA FF0055F9
	v_mul_f32_dpp v134, v249, v134 quad_perm:[2,2,2,2] row_mask:0xf bank_mask:0xf// 00000002B504: 0B0D0CFA FF00AAF9
	v_mul_f32_dpp v135, v249, v135 quad_perm:[3,3,3,3] row_mask:0xf bank_mask:0xf// 00000002B50C: 0B0F0EFA FF00FFF9
	v_mul_f32_dpp v136, v250, v136 quad_perm:[0,0,0,0] row_mask:0xf bank_mask:0xf// 00000002B514: 0B1110FA FF0000FA
	v_mul_f32_dpp v137, v250, v137 quad_perm:[1,1,1,1] row_mask:0xf bank_mask:0xf// 00000002B51C: 0B1312FA FF0055FA
	v_mul_f32_dpp v138, v250, v138 quad_perm:[2,2,2,2] row_mask:0xf bank_mask:0xf// 00000002B524: 0B1514FA FF00AAFA
	v_mul_f32_dpp v139, v250, v139 quad_perm:[3,3,3,3] row_mask:0xf bank_mask:0xf// 00000002B52C: 0B1716FA FF00FFFA
	v_mul_f32_dpp v140, v251, v140 quad_perm:[0,0,0,0] row_mask:0xf bank_mask:0xf// 00000002B534: 0B1918FA FF0000FB
	v_mul_f32_dpp v141, v251, v141 quad_perm:[1,1,1,1] row_mask:0xf bank_mask:0xf// 00000002B53C: 0B1B1AFA FF0055FB
	v_mul_f32_dpp v142, v251, v142 quad_perm:[2,2,2,2] row_mask:0xf bank_mask:0xf// 00000002B544: 0B1D1CFA FF00AAFB
	v_mul_f32_dpp v143, v251, v143 quad_perm:[3,3,3,3] row_mask:0xf bank_mask:0xf// 00000002B54C: 0B1F1EFA FF00FFFB
	s_cmp_le_i32 s90, s89                                      // 00000002B554: BF05595A
	s_cbranch_scc1 label_A548                                  // 00000002B558: BF850071
	v_mov_b32_e32 v66, 0xff800000                              // 00000002B55C: 7E8402FF FF800000
	s_mov_b32 s60, s90                                         // 00000002B564: BEBC005A
	s_add_u32 s61, s89, 0xff                                   // 00000002B568: 803DFF59 000000FF
	v_mov_b32_e32 v64, s61                                     // 00000002B570: 7E80023D
	v_lshrrev_b32_e32 v240, 4, v0                              // 00000002B574: 21E00084
	v_mul_i32_i24_e32 v240, 4, v240                            // 00000002B578: 0DE1E084
	v_add_u32_e32 v240, s60, v240                              // 00000002B57C: 69E1E03C
	s_mov_b32 s61, 1                                           // 00000002B580: BEBD0081
	s_mul_i32 s60, 16, s7                                      // 00000002B584: 923C0790
	v_sub_u32_e64 v240, v240, s61                              // 00000002B588: D13500F0 00007BF0
	v_add_u32_e32 v240, s60, v240                              // 00000002B590: 69E1E03C
	v_add_u32_e32 v241, 1, v240                                // 00000002B594: 69E3E081
	v_add_u32_e32 v242, 2, v240                                // 00000002B598: 69E5E082
	v_add_u32_e32 v243, 3, v240                                // 00000002B59C: 69E7E083
	v_cmp_le_u32_e64 s[40:41], v240, v64                       // 00000002B5A0: D0CB0028 000281F0
	v_add_u32_e32 v240, 64, v240                               // 00000002B5A8: 69E1E0C0
	s_nop 0                                                    // 00000002B5AC: BF800000
	v_cndmask_b32_e64 v128, v66, v128, s[40:41]                // 00000002B5B0: D1000080 00A30142
	v_cmp_le_u32_e64 s[40:41], v241, v64                       // 00000002B5B8: D0CB0028 000281F1
	v_add_u32_e32 v241, 64, v241                               // 00000002B5C0: 69E3E2C0
	s_nop 0                                                    // 00000002B5C4: BF800000
	v_cndmask_b32_e64 v129, v66, v129, s[40:41]                // 00000002B5C8: D1000081 00A30342
	v_cmp_le_u32_e64 s[40:41], v242, v64                       // 00000002B5D0: D0CB0028 000281F2
	v_add_u32_e32 v242, 64, v242                               // 00000002B5D8: 69E5E4C0
	s_nop 0                                                    // 00000002B5DC: BF800000
	v_cndmask_b32_e64 v130, v66, v130, s[40:41]                // 00000002B5E0: D1000082 00A30542
	v_cmp_le_u32_e64 s[40:41], v243, v64                       // 00000002B5E8: D0CB0028 000281F3
	v_add_u32_e32 v243, 64, v243                               // 00000002B5F0: 69E7E6C0
	s_nop 0                                                    // 00000002B5F4: BF800000
	v_cndmask_b32_e64 v131, v66, v131, s[40:41]                // 00000002B5F8: D1000083 00A30742
	v_cmp_le_u32_e64 s[40:41], v240, v64                       // 00000002B600: D0CB0028 000281F0
	v_add_u32_e32 v240, 64, v240                               // 00000002B608: 69E1E0C0
	s_nop 0                                                    // 00000002B60C: BF800000
	v_cndmask_b32_e64 v132, v66, v132, s[40:41]                // 00000002B610: D1000084 00A30942
	v_cmp_le_u32_e64 s[40:41], v241, v64                       // 00000002B618: D0CB0028 000281F1
	v_add_u32_e32 v241, 64, v241                               // 00000002B620: 69E3E2C0
	s_nop 0                                                    // 00000002B624: BF800000
	v_cndmask_b32_e64 v133, v66, v133, s[40:41]                // 00000002B628: D1000085 00A30B42
	v_cmp_le_u32_e64 s[40:41], v242, v64                       // 00000002B630: D0CB0028 000281F2
	v_add_u32_e32 v242, 64, v242                               // 00000002B638: 69E5E4C0
	s_nop 0                                                    // 00000002B63C: BF800000
	v_cndmask_b32_e64 v134, v66, v134, s[40:41]                // 00000002B640: D1000086 00A30D42
	v_cmp_le_u32_e64 s[40:41], v243, v64                       // 00000002B648: D0CB0028 000281F3
	v_add_u32_e32 v243, 64, v243                               // 00000002B650: 69E7E6C0
	s_nop 0                                                    // 00000002B654: BF800000
	v_cndmask_b32_e64 v135, v66, v135, s[40:41]                // 00000002B658: D1000087 00A30F42
	v_cmp_le_u32_e64 s[40:41], v240, v64                       // 00000002B660: D0CB0028 000281F0
	v_add_u32_e32 v240, 64, v240                               // 00000002B668: 69E1E0C0
	s_nop 0                                                    // 00000002B66C: BF800000
	v_cndmask_b32_e64 v136, v66, v136, s[40:41]                // 00000002B670: D1000088 00A31142
	v_cmp_le_u32_e64 s[40:41], v241, v64                       // 00000002B678: D0CB0028 000281F1
	v_add_u32_e32 v241, 64, v241                               // 00000002B680: 69E3E2C0
	s_nop 0                                                    // 00000002B684: BF800000
	v_cndmask_b32_e64 v137, v66, v137, s[40:41]                // 00000002B688: D1000089 00A31342
	v_cmp_le_u32_e64 s[40:41], v242, v64                       // 00000002B690: D0CB0028 000281F2
	v_add_u32_e32 v242, 64, v242                               // 00000002B698: 69E5E4C0
	s_nop 0                                                    // 00000002B69C: BF800000
	v_cndmask_b32_e64 v138, v66, v138, s[40:41]                // 00000002B6A0: D100008A 00A31542
	v_cmp_le_u32_e64 s[40:41], v243, v64                       // 00000002B6A8: D0CB0028 000281F3
	v_add_u32_e32 v243, 64, v243                               // 00000002B6B0: 69E7E6C0
	s_nop 0                                                    // 00000002B6B4: BF800000
	v_cndmask_b32_e64 v139, v66, v139, s[40:41]                // 00000002B6B8: D100008B 00A31742
	v_cmp_le_u32_e64 s[40:41], v240, v64                       // 00000002B6C0: D0CB0028 000281F0
	v_add_u32_e32 v240, 64, v240                               // 00000002B6C8: 69E1E0C0
	s_nop 0                                                    // 00000002B6CC: BF800000
	v_cndmask_b32_e64 v140, v66, v140, s[40:41]                // 00000002B6D0: D100008C 00A31942
	v_cmp_le_u32_e64 s[40:41], v241, v64                       // 00000002B6D8: D0CB0028 000281F1
	v_add_u32_e32 v241, 64, v241                               // 00000002B6E0: 69E3E2C0
	s_nop 0                                                    // 00000002B6E4: BF800000
	v_cndmask_b32_e64 v141, v66, v141, s[40:41]                // 00000002B6E8: D100008D 00A31B42
	v_cmp_le_u32_e64 s[40:41], v242, v64                       // 00000002B6F0: D0CB0028 000281F2
	v_add_u32_e32 v242, 64, v242                               // 00000002B6F8: 69E5E4C0
	s_nop 0                                                    // 00000002B6FC: BF800000
	v_cndmask_b32_e64 v142, v66, v142, s[40:41]                // 00000002B700: D100008E 00A31D42
	v_cmp_le_u32_e64 s[40:41], v243, v64                       // 00000002B708: D0CB0028 000281F3
	v_add_u32_e32 v243, 64, v243                               // 00000002B710: 69E7E6C0
	s_nop 0                                                    // 00000002B714: BF800000
	v_cndmask_b32_e64 v143, v66, v143, s[40:41]                // 00000002B718: D100008F 00A31F42

000000000002b720 <label_A548>:
	s_and_b32 s60, s72, 0xff                                   // 00000002B720: 863CFF48 000000FF
	v_mov_b32_e32 v65, s60                                     // 00000002B728: 7E82023C
	v_lshrrev_b32_e32 v240, 4, v0                              // 00000002B72C: 21E00084
	v_mul_i32_i24_e32 v240, 4, v240                            // 00000002B730: 0DE1E084
	s_mul_i32 s60, s7, 16                                      // 00000002B734: 923C9007
	v_add_u32_e32 v240, s60, v240                              // 00000002B738: 69E1E03C
	v_add_u32_e32 v241, 1, v240                                // 00000002B73C: 69E3E081
	v_add_u32_e32 v242, 2, v240                                // 00000002B740: 69E5E082
	v_add_u32_e32 v243, 3, v240                                // 00000002B744: 69E7E083
	v_mov_b32_e32 v64, 0xff800000                              // 00000002B748: 7E8002FF FF800000
	v_cmp_lt_u32_e64 s[40:41], v240, v65                       // 00000002B750: D0C90028 000283F0
	v_add_u32_e32 v240, 64, v240                               // 00000002B758: 69E1E0C0
	s_nop 0                                                    // 00000002B75C: BF800000
	v_cndmask_b32_e64 v128, v64, v128, s[40:41]                // 00000002B760: D1000080 00A30140
	v_cmp_lt_u32_e64 s[40:41], v241, v65                       // 00000002B768: D0C90028 000283F1
	v_add_u32_e32 v241, 64, v241                               // 00000002B770: 69E3E2C0
	s_nop 0                                                    // 00000002B774: BF800000
	v_cndmask_b32_e64 v129, v64, v129, s[40:41]                // 00000002B778: D1000081 00A30340
	v_cmp_lt_u32_e64 s[40:41], v242, v65                       // 00000002B780: D0C90028 000283F2
	v_add_u32_e32 v242, 64, v242                               // 00000002B788: 69E5E4C0
	s_nop 0                                                    // 00000002B78C: BF800000
	v_cndmask_b32_e64 v130, v64, v130, s[40:41]                // 00000002B790: D1000082 00A30540
	v_cmp_lt_u32_e64 s[40:41], v243, v65                       // 00000002B798: D0C90028 000283F3
	v_add_u32_e32 v243, 64, v243                               // 00000002B7A0: 69E7E6C0
	s_nop 0                                                    // 00000002B7A4: BF800000
	v_cndmask_b32_e64 v131, v64, v131, s[40:41]                // 00000002B7A8: D1000083 00A30740
	v_cmp_lt_u32_e64 s[40:41], v240, v65                       // 00000002B7B0: D0C90028 000283F0
	v_add_u32_e32 v240, 64, v240                               // 00000002B7B8: 69E1E0C0
	s_nop 0                                                    // 00000002B7BC: BF800000
	v_cndmask_b32_e64 v132, v64, v132, s[40:41]                // 00000002B7C0: D1000084 00A30940
	v_cmp_lt_u32_e64 s[40:41], v241, v65                       // 00000002B7C8: D0C90028 000283F1
	v_add_u32_e32 v241, 64, v241                               // 00000002B7D0: 69E3E2C0
	s_nop 0                                                    // 00000002B7D4: BF800000
	v_cndmask_b32_e64 v133, v64, v133, s[40:41]                // 00000002B7D8: D1000085 00A30B40
	v_cmp_lt_u32_e64 s[40:41], v242, v65                       // 00000002B7E0: D0C90028 000283F2
	v_add_u32_e32 v242, 64, v242                               // 00000002B7E8: 69E5E4C0
	s_nop 0                                                    // 00000002B7EC: BF800000
	v_cndmask_b32_e64 v134, v64, v134, s[40:41]                // 00000002B7F0: D1000086 00A30D40
	v_cmp_lt_u32_e64 s[40:41], v243, v65                       // 00000002B7F8: D0C90028 000283F3
	v_add_u32_e32 v243, 64, v243                               // 00000002B800: 69E7E6C0
	s_nop 0                                                    // 00000002B804: BF800000
	v_cndmask_b32_e64 v135, v64, v135, s[40:41]                // 00000002B808: D1000087 00A30F40
	v_cmp_lt_u32_e64 s[40:41], v240, v65                       // 00000002B810: D0C90028 000283F0
	v_add_u32_e32 v240, 64, v240                               // 00000002B818: 69E1E0C0
	s_nop 0                                                    // 00000002B81C: BF800000
	v_cndmask_b32_e64 v136, v64, v136, s[40:41]                // 00000002B820: D1000088 00A31140
	v_cmp_lt_u32_e64 s[40:41], v241, v65                       // 00000002B828: D0C90028 000283F1
	v_add_u32_e32 v241, 64, v241                               // 00000002B830: 69E3E2C0
	s_nop 0                                                    // 00000002B834: BF800000
	v_cndmask_b32_e64 v137, v64, v137, s[40:41]                // 00000002B838: D1000089 00A31340
	v_cmp_lt_u32_e64 s[40:41], v242, v65                       // 00000002B840: D0C90028 000283F2
	v_add_u32_e32 v242, 64, v242                               // 00000002B848: 69E5E4C0
	s_nop 0                                                    // 00000002B84C: BF800000
	v_cndmask_b32_e64 v138, v64, v138, s[40:41]                // 00000002B850: D100008A 00A31540
	v_cmp_lt_u32_e64 s[40:41], v243, v65                       // 00000002B858: D0C90028 000283F3
	v_add_u32_e32 v243, 64, v243                               // 00000002B860: 69E7E6C0
	s_nop 0                                                    // 00000002B864: BF800000
	v_cndmask_b32_e64 v139, v64, v139, s[40:41]                // 00000002B868: D100008B 00A31740
	v_cmp_lt_u32_e64 s[40:41], v240, v65                       // 00000002B870: D0C90028 000283F0
	v_add_u32_e32 v240, 64, v240                               // 00000002B878: 69E1E0C0
	s_nop 0                                                    // 00000002B87C: BF800000
	v_cndmask_b32_e64 v140, v64, v140, s[40:41]                // 00000002B880: D100008C 00A31940
	v_cmp_lt_u32_e64 s[40:41], v241, v65                       // 00000002B888: D0C90028 000283F1
	v_add_u32_e32 v241, 64, v241                               // 00000002B890: 69E3E2C0
	s_nop 0                                                    // 00000002B894: BF800000
	v_cndmask_b32_e64 v141, v64, v141, s[40:41]                // 00000002B898: D100008D 00A31B40
	v_cmp_lt_u32_e64 s[40:41], v242, v65                       // 00000002B8A0: D0C90028 000283F2
	v_add_u32_e32 v242, 64, v242                               // 00000002B8A8: 69E5E4C0
	s_nop 0                                                    // 00000002B8AC: BF800000
	v_cndmask_b32_e64 v142, v64, v142, s[40:41]                // 00000002B8B0: D100008E 00A31D40
	v_cmp_lt_u32_e64 s[40:41], v243, v65                       // 00000002B8B8: D0C90028 000283F3
	v_add_u32_e32 v243, 64, v243                               // 00000002B8C0: 69E7E6C0
	s_nop 0                                                    // 00000002B8C4: BF800000
	v_cndmask_b32_e64 v143, v64, v143, s[40:41]                // 00000002B8C8: D100008F 00A31F40
	v_mov_b32_e32 v48, v128                                    // 00000002B8D0: 7E600380
	v_max3_f32 v48, v128, v129, v48                            // 00000002B8D4: D1D30030 04C30380
	v_max3_f32 v48, v130, v131, v48                            // 00000002B8DC: D1D30030 04C30782
	v_max3_f32 v48, v132, v133, v48                            // 00000002B8E4: D1D30030 04C30B84
	v_max3_f32 v48, v134, v135, v48                            // 00000002B8EC: D1D30030 04C30F86
	v_max3_f32 v48, v136, v137, v48                            // 00000002B8F4: D1D30030 04C31388
	v_max3_f32 v48, v138, v139, v48                            // 00000002B8FC: D1D30030 04C3178A
	v_max3_f32 v48, v140, v141, v48                            // 00000002B904: D1D30030 04C31B8C
	v_max3_f32 v48, v142, v143, v48                            // 00000002B90C: D1D30030 04C31F8E
	ds_write_b32 v8, v48 offset:16896                          // 00000002B914: D81A4200 00003008
	v_mul_f32_e32 v216, v50, v216                              // 00000002B91C: 0BB1B132
	v_mul_f32_e32 v217, v50, v217                              // 00000002B920: 0BB3B332
	v_mul_f32_e32 v218, v50, v218                              // 00000002B924: 0BB5B532
	v_mul_f32_e32 v219, v50, v219                              // 00000002B928: 0BB7B732
	v_mul_f32_e32 v220, v50, v220                              // 00000002B92C: 0BB9B932
	v_mul_f32_e32 v221, v50, v221                              // 00000002B930: 0BBBBB32
	v_mul_f32_e32 v222, v50, v222                              // 00000002B934: 0BBDBD32
	v_mul_f32_e32 v223, v50, v223                              // 00000002B938: 0BBFBF32
	s_waitcnt lgkmcnt(0)                                       // 00000002B93C: BF8CC07F
	s_barrier                                                  // 00000002B940: BF8A0000
	ds_read_b32 v64, v7 offset:16896                           // 00000002B944: D86C4200 40000007
	ds_read_b32 v65, v7 offset:16960                           // 00000002B94C: D86C4240 41000007
	ds_read_b32 v66, v7 offset:17024                           // 00000002B954: D86C4280 42000007
	ds_read_b32 v67, v7 offset:17088                           // 00000002B95C: D86C42C0 43000007
	ds_read_b32 v68, v7 offset:17152                           // 00000002B964: D86C4300 44000007
	ds_read_b32 v69, v7 offset:17216                           // 00000002B96C: D86C4340 45000007
	ds_read_b32 v70, v7 offset:17280                           // 00000002B974: D86C4380 46000007
	ds_read_b32 v71, v7 offset:17344                           // 00000002B97C: D86C43C0 47000007
	ds_read_b32 v72, v7 offset:17408                           // 00000002B984: D86C4400 48000007
	ds_read_b32 v73, v7 offset:17472                           // 00000002B98C: D86C4440 49000007
	ds_read_b32 v74, v7 offset:17536                           // 00000002B994: D86C4480 4A000007
	ds_read_b32 v75, v7 offset:17600                           // 00000002B99C: D86C44C0 4B000007
	ds_read_b32 v76, v7 offset:17664                           // 00000002B9A4: D86C4500 4C000007
	ds_read_b32 v77, v7 offset:17728                           // 00000002B9AC: D86C4540 4D000007
	ds_read_b32 v78, v7 offset:17792                           // 00000002B9B4: D86C4580 4E000007
	ds_read_b32 v79, v7 offset:17856                           // 00000002B9BC: D86C45C0 4F000007
	v_cvt_f32_i32_e32 v184, v184                               // 00000002B9C4: 7F700BB8
	v_cvt_f32_i32_e32 v185, v185                               // 00000002B9C8: 7F720BB9
	v_cvt_f32_i32_e32 v186, v186                               // 00000002B9CC: 7F740BBA
	v_cvt_f32_i32_e32 v187, v187                               // 00000002B9D0: 7F760BBB
	v_cvt_f32_i32_e32 v188, v188                               // 00000002B9D4: 7F780BBC
	v_cvt_f32_i32_e32 v189, v189                               // 00000002B9D8: 7F7A0BBD
	v_cvt_f32_i32_e32 v190, v190                               // 00000002B9DC: 7F7C0BBE
	v_cvt_f32_i32_e32 v191, v191                               // 00000002B9E0: 7F7E0BBF
	v_mul_f32_e32 v184, v45, v184                              // 00000002B9E4: 0B71712D
	v_mul_f32_e32 v185, v45, v185                              // 00000002B9E8: 0B73732D
	v_mul_f32_e32 v186, v45, v186                              // 00000002B9EC: 0B75752D
	v_mul_f32_e32 v187, v45, v187                              // 00000002B9F0: 0B77772D
	v_mul_f32_e32 v188, v45, v188                              // 00000002B9F4: 0B79792D
	v_mul_f32_e32 v189, v45, v189                              // 00000002B9F8: 0B7B7B2D
	v_mul_f32_e32 v190, v45, v190                              // 00000002B9FC: 0B7D7D2D
	v_mul_f32_e32 v191, v45, v191                              // 00000002BA00: 0B7F7F2D
	s_waitcnt lgkmcnt(0)                                       // 00000002BA04: BF8CC07F
	v_max3_f32 v48, v64, v65, v48                              // 00000002BA08: D1D30030 04C28340
	v_max3_f32 v48, v66, v67, v48                              // 00000002BA10: D1D30030 04C28742
	v_max3_f32 v48, v68, v69, v48                              // 00000002BA18: D1D30030 04C28B44
	v_max3_f32 v48, v70, v71, v48                              // 00000002BA20: D1D30030 04C28F46
	v_max3_f32 v48, v72, v73, v48                              // 00000002BA28: D1D30030 04C29348
	v_max3_f32 v48, v74, v75, v48                              // 00000002BA30: D1D30030 04C2974A
	v_max3_f32 v48, v76, v77, v48                              // 00000002BA38: D1D30030 04C29B4C
	v_max3_f32 v48, v78, v79, v48                              // 00000002BA40: D1D30030 04C29F4E
	v_mov_b32_e32 v64, 0xff800000                              // 00000002BA48: 7E8002FF FF800000
	v_cmp_eq_u32_e64 s[40:41], v64, v12                        // 00000002BA50: D0CA0028 00021940
	s_nop 1                                                    // 00000002BA58: BF800001
	v_max_f32_e32 v15, v48, v12                                // 00000002BA5C: 161E1930
	v_mul_f32_e32 v53, s64, v15                                // 00000002BA60: 0A6A1E40
	v_fma_f32 v128, v128, s64, -v53                            // 00000002BA64: D1CB0080 84D48180
	v_fma_f32 v129, v129, s64, -v53                            // 00000002BA6C: D1CB0081 84D48181
	v_fma_f32 v130, v130, s64, -v53                            // 00000002BA74: D1CB0082 84D48182
	v_fma_f32 v131, v131, s64, -v53                            // 00000002BA7C: D1CB0083 84D48183
	v_fma_f32 v132, v132, s64, -v53                            // 00000002BA84: D1CB0084 84D48184
	v_fma_f32 v133, v133, s64, -v53                            // 00000002BA8C: D1CB0085 84D48185
	v_fma_f32 v134, v134, s64, -v53                            // 00000002BA94: D1CB0086 84D48186
	v_fma_f32 v135, v135, s64, -v53                            // 00000002BA9C: D1CB0087 84D48187
	v_fma_f32 v136, v136, s64, -v53                            // 00000002BAA4: D1CB0088 84D48188
	v_fma_f32 v137, v137, s64, -v53                            // 00000002BAAC: D1CB0089 84D48189
	v_fma_f32 v138, v138, s64, -v53                            // 00000002BAB4: D1CB008A 84D4818A
	v_fma_f32 v139, v139, s64, -v53                            // 00000002BABC: D1CB008B 84D4818B
	v_fma_f32 v140, v140, s64, -v53                            // 00000002BAC4: D1CB008C 84D4818C
	v_fma_f32 v141, v141, s64, -v53                            // 00000002BACC: D1CB008D 84D4818D
	v_fma_f32 v142, v142, s64, -v53                            // 00000002BAD4: D1CB008E 84D4818E
	v_fma_f32 v143, v143, s64, -v53                            // 00000002BADC: D1CB008F 84D4818F
	v_exp_f32_e32 v128, v128                                   // 00000002BAE4: 7F004180
	v_exp_f32_e32 v129, v129                                   // 00000002BAE8: 7F024181
	v_exp_f32_e32 v130, v130                                   // 00000002BAEC: 7F044182
	v_exp_f32_e32 v131, v131                                   // 00000002BAF0: 7F064183
	v_exp_f32_e32 v132, v132                                   // 00000002BAF4: 7F084184
	v_exp_f32_e32 v133, v133                                   // 00000002BAF8: 7F0A4185
	v_exp_f32_e32 v134, v134                                   // 00000002BAFC: 7F0C4186
	v_exp_f32_e32 v135, v135                                   // 00000002BB00: 7F0E4187
	v_exp_f32_e32 v136, v136                                   // 00000002BB04: 7F104188
	v_exp_f32_e32 v137, v137                                   // 00000002BB08: 7F124189
	v_exp_f32_e32 v138, v138                                   // 00000002BB0C: 7F14418A
	v_exp_f32_e32 v139, v139                                   // 00000002BB10: 7F16418B
	v_exp_f32_e32 v140, v140                                   // 00000002BB14: 7F18418C
	v_exp_f32_e32 v141, v141                                   // 00000002BB18: 7F1A418D
	v_exp_f32_e32 v142, v142                                   // 00000002BB1C: 7F1C418E
	v_exp_f32_e32 v143, v143                                   // 00000002BB20: 7F1E418F
	v_mul_f32_dpp v240, v252, v128 quad_perm:[0,0,0,0] row_mask:0xf bank_mask:0xf// 00000002BB24: 0BE100FA FF0000FC
	v_mul_f32_dpp v241, v252, v129 quad_perm:[1,1,1,1] row_mask:0xf bank_mask:0xf// 00000002BB2C: 0BE302FA FF0055FC
	v_mul_f32_dpp v242, v252, v130 quad_perm:[2,2,2,2] row_mask:0xf bank_mask:0xf// 00000002BB34: 0BE504FA FF00AAFC
	v_mul_f32_dpp v243, v252, v131 quad_perm:[3,3,3,3] row_mask:0xf bank_mask:0xf// 00000002BB3C: 0BE706FA FF00FFFC
	v_mul_f32_dpp v244, v253, v132 quad_perm:[0,0,0,0] row_mask:0xf bank_mask:0xf// 00000002BB44: 0BE908FA FF0000FD
	v_mul_f32_dpp v245, v253, v133 quad_perm:[1,1,1,1] row_mask:0xf bank_mask:0xf// 00000002BB4C: 0BEB0AFA FF0055FD
	v_mul_f32_dpp v246, v253, v134 quad_perm:[2,2,2,2] row_mask:0xf bank_mask:0xf// 00000002BB54: 0BED0CFA FF00AAFD
	v_mul_f32_dpp v247, v253, v135 quad_perm:[3,3,3,3] row_mask:0xf bank_mask:0xf// 00000002BB5C: 0BEF0EFA FF00FFFD
	v_mul_f32_dpp v248, v254, v136 quad_perm:[0,0,0,0] row_mask:0xf bank_mask:0xf// 00000002BB64: 0BF110FA FF0000FE
	v_mul_f32_dpp v249, v254, v137 quad_perm:[1,1,1,1] row_mask:0xf bank_mask:0xf// 00000002BB6C: 0BF312FA FF0055FE
	v_mul_f32_dpp v250, v254, v138 quad_perm:[2,2,2,2] row_mask:0xf bank_mask:0xf// 00000002BB74: 0BF514FA FF00AAFE
	v_mul_f32_dpp v251, v254, v139 quad_perm:[3,3,3,3] row_mask:0xf bank_mask:0xf// 00000002BB7C: 0BF716FA FF00FFFE
	v_mul_f32_dpp v252, v255, v140 quad_perm:[0,0,0,0] row_mask:0xf bank_mask:0xf// 00000002BB84: 0BF918FA FF0000FF
	v_mul_f32_dpp v253, v255, v141 quad_perm:[1,1,1,1] row_mask:0xf bank_mask:0xf// 00000002BB8C: 0BFB1AFA FF0055FF
	v_mul_f32_dpp v254, v255, v142 quad_perm:[2,2,2,2] row_mask:0xf bank_mask:0xf// 00000002BB94: 0BFD1CFA FF00AAFF
	v_mul_f32_dpp v255, v255, v143 quad_perm:[3,3,3,3] row_mask:0xf bank_mask:0xf// 00000002BB9C: 0BFF1EFA FF00FFFF
	v_mov_b32_e32 v48, 0x358637bd                              // 00000002BBA4: 7E6002FF 358637BD
	v_max3_f32 v48, |v240|, |v241|, v48                        // 00000002BBAC: D1D30330 04C3E3F0
	v_max3_f32 v48, |v242|, |v243|, v48                        // 00000002BBB4: D1D30330 04C3E7F2
	v_max3_f32 v48, |v244|, |v245|, v48                        // 00000002BBBC: D1D30330 04C3EBF4
	v_max3_f32 v48, |v246|, |v247|, v48                        // 00000002BBC4: D1D30330 04C3EFF6
	v_max3_f32 v48, |v248|, |v249|, v48                        // 00000002BBCC: D1D30330 04C3F3F8
	v_max3_f32 v48, |v250|, |v251|, v48                        // 00000002BBD4: D1D30330 04C3F7FA
	v_max3_f32 v48, |v252|, |v253|, v48                        // 00000002BBDC: D1D30330 04C3FBFC
	v_max3_f32 v48, |v254|, |v255|, v48                        // 00000002BBE4: D1D30330 04C3FFFE
	ds_write_b32 v8, v48 offset:20992                          // 00000002BBEC: D81A5200 00003008
	v_sub_f32_e32 v50, v12, v15                                // 00000002BBF4: 04641F0C
	v_cndmask_b32_e64 v50, v50, 0, s[40:41]                    // 00000002BBF8: D1000032 00A10132
	v_mov_b32_e32 v12, v15                                     // 00000002BC00: 7E18030F
	v_mul_f32_e32 v50, s64, v50                                // 00000002BC04: 0A646440
	v_exp_f32_e32 v50, v50                                     // 00000002BC08: 7E644132
	s_waitcnt lgkmcnt(0)                                       // 00000002BC0C: BF8CC07F
	s_barrier                                                  // 00000002BC10: BF8A0000
	ds_read_b32 v64, v7 offset:20992                           // 00000002BC14: D86C5200 40000007
	ds_read_b32 v65, v7 offset:21056                           // 00000002BC1C: D86C5240 41000007
	ds_read_b32 v66, v7 offset:21120                           // 00000002BC24: D86C5280 42000007
	ds_read_b32 v67, v7 offset:21184                           // 00000002BC2C: D86C52C0 43000007
	ds_read_b32 v68, v7 offset:21248                           // 00000002BC34: D86C5300 44000007
	ds_read_b32 v69, v7 offset:21312                           // 00000002BC3C: D86C5340 45000007
	ds_read_b32 v70, v7 offset:21376                           // 00000002BC44: D86C5380 46000007
	ds_read_b32 v71, v7 offset:21440                           // 00000002BC4C: D86C53C0 47000007
	ds_read_b32 v72, v7 offset:21504                           // 00000002BC54: D86C5400 48000007
	ds_read_b32 v73, v7 offset:21568                           // 00000002BC5C: D86C5440 49000007
	ds_read_b32 v74, v7 offset:21632                           // 00000002BC64: D86C5480 4A000007
	ds_read_b32 v75, v7 offset:21696                           // 00000002BC6C: D86C54C0 4B000007
	ds_read_b32 v76, v7 offset:21760                           // 00000002BC74: D86C5500 4C000007
	ds_read_b32 v77, v7 offset:21824                           // 00000002BC7C: D86C5540 4D000007
	ds_read_b32 v78, v7 offset:21888                           // 00000002BC84: D86C5580 4E000007
	ds_read_b32 v79, v7 offset:21952                           // 00000002BC8C: D86C55C0 4F000007
	v_mul_f32_e32 v39, v50, v39                                // 00000002BC94: 0A4E4F32
	v_mov_b32_e32 v15, v128                                    // 00000002BC98: 7E1E0380
	v_add_f32_e32 v15, v129, v15                               // 00000002BC9C: 021E1F81
	v_add_f32_e32 v15, v130, v15                               // 00000002BCA0: 021E1F82
	v_add_f32_e32 v15, v131, v15                               // 00000002BCA4: 021E1F83
	v_add_f32_e32 v15, v132, v15                               // 00000002BCA8: 021E1F84
	v_add_f32_e32 v15, v133, v15                               // 00000002BCAC: 021E1F85
	v_add_f32_e32 v15, v134, v15                               // 00000002BCB0: 021E1F86
	v_add_f32_e32 v15, v135, v15                               // 00000002BCB4: 021E1F87
	v_add_f32_e32 v15, v136, v15                               // 00000002BCB8: 021E1F88
	v_add_f32_e32 v15, v137, v15                               // 00000002BCBC: 021E1F89
	v_add_f32_e32 v15, v138, v15                               // 00000002BCC0: 021E1F8A
	v_add_f32_e32 v15, v139, v15                               // 00000002BCC4: 021E1F8B
	v_add_f32_e32 v15, v140, v15                               // 00000002BCC8: 021E1F8C
	v_add_f32_e32 v15, v141, v15                               // 00000002BCCC: 021E1F8D
	v_add_f32_e32 v15, v142, v15                               // 00000002BCD0: 021E1F8E
	v_add_f32_e32 v15, v143, v15                               // 00000002BCD4: 021E1F8F
	v_add_f32_e32 v39, v15, v39                                // 00000002BCD8: 024E4F0F
	s_waitcnt lgkmcnt(0)                                       // 00000002BCDC: BF8CC07F
	v_max3_f32 v48, |v64|, |v65|, v48                          // 00000002BCE0: D1D30330 04C28340
	v_max3_f32 v48, |v66|, |v67|, v48                          // 00000002BCE8: D1D30330 04C28742
	v_max3_f32 v48, |v68|, |v69|, v48                          // 00000002BCF0: D1D30330 04C28B44
	v_max3_f32 v48, |v70|, |v71|, v48                          // 00000002BCF8: D1D30330 04C28F46
	v_max3_f32 v48, |v72|, |v73|, v48                          // 00000002BD00: D1D30330 04C29348
	v_max3_f32 v48, |v74|, |v75|, v48                          // 00000002BD08: D1D30330 04C2974A
	v_max3_f32 v48, |v76|, |v77|, v48                          // 00000002BD10: D1D30330 04C29B4C
	v_max3_f32 v48, |v78|, |v79|, v48                          // 00000002BD18: D1D30330 04C29F4E
	s_nop 2                                                    // 00000002BD20: BF800002
	v_rcp_f32_e32 v48, v48                                     // 00000002BD24: 7E604530
	s_nop 1                                                    // 00000002BD28: BF800001
	v_mul_f32_e32 v48, 0x42fe0000, v48                         // 00000002BD2C: 0A6060FF 42FE0000
	v_mul_f32_e32 v128, v48, v240                              // 00000002BD34: 0B01E130
	v_mul_f32_e32 v129, v48, v241                              // 00000002BD38: 0B03E330
	v_mul_f32_e32 v130, v48, v242                              // 00000002BD3C: 0B05E530
	v_mul_f32_e32 v131, v48, v243                              // 00000002BD40: 0B07E730
	v_mul_f32_e32 v132, v48, v244                              // 00000002BD44: 0B09E930
	v_mul_f32_e32 v133, v48, v245                              // 00000002BD48: 0B0BEB30
	v_mul_f32_e32 v134, v48, v246                              // 00000002BD4C: 0B0DED30
	v_mul_f32_e32 v135, v48, v247                              // 00000002BD50: 0B0FEF30
	v_mul_f32_e32 v136, v48, v248                              // 00000002BD54: 0B11F130
	v_mul_f32_e32 v137, v48, v249                              // 00000002BD58: 0B13F330
	v_mul_f32_e32 v138, v48, v250                              // 00000002BD5C: 0B15F530
	v_mul_f32_e32 v139, v48, v251                              // 00000002BD60: 0B17F730
	v_mul_f32_e32 v140, v48, v252                              // 00000002BD64: 0B19F930
	v_mul_f32_e32 v141, v48, v253                              // 00000002BD68: 0B1BFB30
	v_mul_f32_e32 v142, v48, v254                              // 00000002BD6C: 0B1DFD30
	v_mul_f32_e32 v143, v48, v255                              // 00000002BD70: 0B1FFF30
	v_cvt_i32_f32_e32 v128, v128                               // 00000002BD74: 7F001180
	v_cvt_i32_f32_e32 v129, v129                               // 00000002BD78: 7F021181
	v_cvt_i32_f32_e32 v130, v130                               // 00000002BD7C: 7F041182
	v_cvt_i32_f32_e32 v131, v131                               // 00000002BD80: 7F061183
	v_cvt_i32_f32_e32 v132, v132                               // 00000002BD84: 7F081184
	v_cvt_i32_f32_e32 v133, v133                               // 00000002BD88: 7F0A1185
	v_cvt_i32_f32_e32 v134, v134                               // 00000002BD8C: 7F0C1186
	v_cvt_i32_f32_e32 v135, v135                               // 00000002BD90: 7F0E1187
	v_cvt_i32_f32_e32 v136, v136                               // 00000002BD94: 7F101188
	v_cvt_i32_f32_e32 v137, v137                               // 00000002BD98: 7F121189
	v_cvt_i32_f32_e32 v138, v138                               // 00000002BD9C: 7F14118A
	v_cvt_i32_f32_e32 v139, v139                               // 00000002BDA0: 7F16118B
	v_cvt_i32_f32_e32 v140, v140                               // 00000002BDA4: 7F18118C
	v_cvt_i32_f32_e32 v141, v141                               // 00000002BDA8: 7F1A118D
	v_cvt_i32_f32_e32 v142, v142                               // 00000002BDAC: 7F1C118E
	v_cvt_i32_f32_e32 v143, v143                               // 00000002BDB0: 7F1E118F
	v_perm_b32 v128, v129, v128, s53                           // 00000002BDB4: D1ED0080 00D70181
	v_perm_b32 v128, v130, v128, s54                           // 00000002BDBC: D1ED0080 00DB0182
	v_perm_b32 v128, v131, v128, s55                           // 00000002BDC4: D1ED0080 00DF0183
	v_perm_b32 v129, v133, v132, s53                           // 00000002BDCC: D1ED0081 00D70985
	v_perm_b32 v129, v134, v129, s54                           // 00000002BDD4: D1ED0081 00DB0386
	v_perm_b32 v129, v135, v129, s55                           // 00000002BDDC: D1ED0081 00DF0387
	v_perm_b32 v130, v137, v136, s53                           // 00000002BDE4: D1ED0082 00D71189
	v_perm_b32 v130, v138, v130, s54                           // 00000002BDEC: D1ED0082 00DB058A
	v_perm_b32 v130, v139, v130, s55                           // 00000002BDF4: D1ED0082 00DF058B
	v_perm_b32 v131, v141, v140, s53                           // 00000002BDFC: D1ED0083 00D7198D
	v_perm_b32 v131, v142, v131, s54                           // 00000002BE04: D1ED0083 00DB078E
	v_perm_b32 v131, v143, v131, s55                           // 00000002BE0C: D1ED0083 00DF078F
	ds_write_b32 v10, v128 offset:29184                        // 00000002BE14: D81A7200 0000800A
	ds_write_b32 v10, v129 offset:30208                        // 00000002BE1C: D81A7600 0000810A
	ds_write_b32 v10, v130 offset:31232                        // 00000002BE24: D81A7A00 0000820A
	ds_write_b32 v10, v131 offset:32256                        // 00000002BE2C: D81A7E00 0000830A
	v_add_f32_e32 v216, v216, v184                             // 00000002BE34: 03B171D8
	v_add_f32_e32 v217, v217, v185                             // 00000002BE38: 03B373D9
	v_add_f32_e32 v218, v218, v186                             // 00000002BE3C: 03B575DA
	v_add_f32_e32 v219, v219, v187                             // 00000002BE40: 03B777DB
	v_add_f32_e32 v220, v220, v188                             // 00000002BE44: 03B979DC
	v_add_f32_e32 v221, v221, v189                             // 00000002BE48: 03BB7BDD
	v_add_f32_e32 v222, v222, v190                             // 00000002BE4C: 03BD7DDE
	v_add_f32_e32 v223, v223, v191                             // 00000002BE50: 03BF7FDF
	v_rcp_f32_e32 v45, v48                                     // 00000002BE54: 7E5A4530
	s_waitcnt lgkmcnt(0)                                       // 00000002BE58: BF8CC07F
	s_barrier                                                  // 00000002BE5C: BF8A0000
	ds_read_b64 v[128:129], v9 offset:29184                    // 00000002BE60: D8EC7200 80000009
	ds_read_b64 v[130:131], v9 offset:29312                    // 00000002BE68: D8EC7280 82000009
	ds_read_b64 v[132:133], v9 offset:30208                    // 00000002BE70: D8EC7600 84000009
	ds_read_b64 v[134:135], v9 offset:30336                    // 00000002BE78: D8EC7680 86000009
	ds_read_b64 v[136:137], v9 offset:31232                    // 00000002BE80: D8EC7A00 88000009
	ds_read_b64 v[138:139], v9 offset:31360                    // 00000002BE88: D8EC7A80 8A000009
	ds_read_b64 v[140:141], v9 offset:32256                    // 00000002BE90: D8EC7E00 8C000009
	ds_read_b64 v[142:143], v9 offset:32384                    // 00000002BE98: D8EC7E80 8E000009
	v_mov_b32_dpp v64, v42 row_shr:4 row_mask:0xf bank_mask:0xf// 00000002BEA0: 7E8002FA FF01142A
	v_mov_b32_dpp v65, v42 row_shl:4 row_mask:0xf bank_mask:0xf// 00000002BEA8: 7E8202FA FF01042A
	v_cndmask_b32_e64 v248, v42, v64, s[44:45]                 // 00000002BEB0: D10000F8 00B2812A
	v_cndmask_b32_e64 v249, v65, v42, s[44:45]                 // 00000002BEB8: D10000F9 00B25541
	v_mov_b32_dpp v64, v248 row_shr:8 row_mask:0xf bank_mask:0xf// 00000002BEC0: 7E8002FA FF0118F8
	v_mov_b32_dpp v65, v248 row_shl:8 row_mask:0xf bank_mask:0xf// 00000002BEC8: 7E8202FA FF0108F8
	v_mov_b32_dpp v66, v249 row_shr:8 row_mask:0xf bank_mask:0xf// 00000002BED0: 7E8402FA FF0118F9
	v_mov_b32_dpp v67, v249 row_shl:8 row_mask:0xf bank_mask:0xf// 00000002BED8: 7E8602FA FF0108F9
	v_mov_b32_e32 v68, v248                                    // 00000002BEE0: 7E8803F8
	v_mov_b32_e32 v69, v249                                    // 00000002BEE4: 7E8A03F9
	v_cndmask_b32_e64 v248, v68, v64, s[42:43]                 // 00000002BEE8: D10000F8 00AA8144
	v_cndmask_b32_e64 v250, v68, v65, s[78:79]                 // 00000002BEF0: D10000FA 013A8344
	v_cndmask_b32_e64 v249, v69, v66, s[42:43]                 // 00000002BEF8: D10000F9 00AA8545
	v_cndmask_b32_e64 v251, v69, v67, s[78:79]                 // 00000002BF00: D10000FB 013A8745
	v_mov_b32_dpp v64, v57 row_shr:4 row_mask:0xf bank_mask:0xf// 00000002BF08: 7E8002FA FF011439
	v_mov_b32_dpp v65, v57 row_shl:4 row_mask:0xf bank_mask:0xf// 00000002BF10: 7E8202FA FF010439
	v_cndmask_b32_e64 v252, v57, v64, s[44:45]                 // 00000002BF18: D10000FC 00B28139
	v_cndmask_b32_e64 v253, v65, v57, s[44:45]                 // 00000002BF20: D10000FD 00B27341
	v_mov_b32_dpp v64, v252 row_shr:8 row_mask:0xf bank_mask:0xf// 00000002BF28: 7E8002FA FF0118FC
	v_mov_b32_dpp v65, v252 row_shl:8 row_mask:0xf bank_mask:0xf// 00000002BF30: 7E8202FA FF0108FC
	v_mov_b32_dpp v66, v253 row_shr:8 row_mask:0xf bank_mask:0xf// 00000002BF38: 7E8402FA FF0118FD
	v_mov_b32_dpp v67, v253 row_shl:8 row_mask:0xf bank_mask:0xf// 00000002BF40: 7E8602FA FF0108FD
	v_mov_b32_e32 v68, v252                                    // 00000002BF48: 7E8803FC
	v_mov_b32_e32 v69, v253                                    // 00000002BF4C: 7E8A03FD
	v_cndmask_b32_e64 v252, v68, v64, s[42:43]                 // 00000002BF50: D10000FC 00AA8144
	v_cndmask_b32_e64 v254, v68, v65, s[78:79]                 // 00000002BF58: D10000FE 013A8344
	v_cndmask_b32_e64 v253, v69, v66, s[42:43]                 // 00000002BF60: D10000FD 00AA8545
	v_cndmask_b32_e64 v255, v69, v67, s[78:79]                 // 00000002BF68: D10000FF 013A8745
	v_cvt_f32_i32_e32 v144, v144                               // 00000002BF70: 7F200B90
	v_cvt_f32_i32_e32 v145, v145                               // 00000002BF74: 7F220B91
	v_cvt_f32_i32_e32 v146, v146                               // 00000002BF78: 7F240B92
	v_cvt_f32_i32_e32 v147, v147                               // 00000002BF7C: 7F260B93
	v_cvt_f32_i32_e32 v148, v148                               // 00000002BF80: 7F280B94
	v_cvt_f32_i32_e32 v149, v149                               // 00000002BF84: 7F2A0B95
	v_cvt_f32_i32_e32 v150, v150                               // 00000002BF88: 7F2C0B96
	v_cvt_f32_i32_e32 v151, v151                               // 00000002BF8C: 7F2E0B97
	v_cvt_f32_i32_e32 v152, v152                               // 00000002BF90: 7F300B98
	v_cvt_f32_i32_e32 v153, v153                               // 00000002BF94: 7F320B99
	v_cvt_f32_i32_e32 v154, v154                               // 00000002BF98: 7F340B9A
	v_cvt_f32_i32_e32 v155, v155                               // 00000002BF9C: 7F360B9B
	v_cvt_f32_i32_e32 v156, v156                               // 00000002BFA0: 7F380B9C
	v_cvt_f32_i32_e32 v157, v157                               // 00000002BFA4: 7F3A0B9D
	v_cvt_f32_i32_e32 v158, v158                               // 00000002BFA8: 7F3C0B9E
	v_cvt_f32_i32_e32 v159, v159                               // 00000002BFAC: 7F3E0B9F
	v_mul_f32_e32 v144, v20, v144                              // 00000002BFB0: 0B212114
	v_mul_f32_e32 v145, v20, v145                              // 00000002BFB4: 0B232314
	v_mul_f32_e32 v146, v20, v146                              // 00000002BFB8: 0B252514
	v_mul_f32_e32 v147, v20, v147                              // 00000002BFBC: 0B272714
	v_mul_f32_e32 v148, v20, v148                              // 00000002BFC0: 0B292914
	v_mul_f32_e32 v149, v20, v149                              // 00000002BFC4: 0B2B2B14
	v_mul_f32_e32 v150, v20, v150                              // 00000002BFC8: 0B2D2D14
	v_mul_f32_e32 v151, v20, v151                              // 00000002BFCC: 0B2F2F14
	v_mul_f32_e32 v152, v20, v152                              // 00000002BFD0: 0B313114
	v_mul_f32_e32 v153, v20, v153                              // 00000002BFD4: 0B333314
	v_mul_f32_e32 v154, v20, v154                              // 00000002BFD8: 0B353514
	v_mul_f32_e32 v155, v20, v155                              // 00000002BFDC: 0B373714
	v_mul_f32_e32 v156, v20, v156                              // 00000002BFE0: 0B393914
	v_mul_f32_e32 v157, v20, v157                              // 00000002BFE4: 0B3B3B14
	v_mul_f32_e32 v158, v20, v158                              // 00000002BFE8: 0B3D3D14
	v_mul_f32_e32 v159, v20, v159                              // 00000002BFEC: 0B3F3F14
	v_mul_f32_dpp v144, v248, v144 quad_perm:[0,0,0,0] row_mask:0xf bank_mask:0xf// 00000002BFF0: 0B2120FA FF0000F8
	v_mul_f32_dpp v145, v248, v145 quad_perm:[1,1,1,1] row_mask:0xf bank_mask:0xf// 00000002BFF8: 0B2322FA FF0055F8
	v_mul_f32_dpp v146, v248, v146 quad_perm:[2,2,2,2] row_mask:0xf bank_mask:0xf// 00000002C000: 0B2524FA FF00AAF8
	v_mul_f32_dpp v147, v248, v147 quad_perm:[3,3,3,3] row_mask:0xf bank_mask:0xf// 00000002C008: 0B2726FA FF00FFF8
	v_mul_f32_dpp v148, v249, v148 quad_perm:[0,0,0,0] row_mask:0xf bank_mask:0xf// 00000002C010: 0B2928FA FF0000F9
	v_mul_f32_dpp v149, v249, v149 quad_perm:[1,1,1,1] row_mask:0xf bank_mask:0xf// 00000002C018: 0B2B2AFA FF0055F9
	v_mul_f32_dpp v150, v249, v150 quad_perm:[2,2,2,2] row_mask:0xf bank_mask:0xf// 00000002C020: 0B2D2CFA FF00AAF9
	v_mul_f32_dpp v151, v249, v151 quad_perm:[3,3,3,3] row_mask:0xf bank_mask:0xf// 00000002C028: 0B2F2EFA FF00FFF9
	v_mul_f32_dpp v152, v250, v152 quad_perm:[0,0,0,0] row_mask:0xf bank_mask:0xf// 00000002C030: 0B3130FA FF0000FA
	v_mul_f32_dpp v153, v250, v153 quad_perm:[1,1,1,1] row_mask:0xf bank_mask:0xf// 00000002C038: 0B3332FA FF0055FA
	v_mul_f32_dpp v154, v250, v154 quad_perm:[2,2,2,2] row_mask:0xf bank_mask:0xf// 00000002C040: 0B3534FA FF00AAFA
	v_mul_f32_dpp v155, v250, v155 quad_perm:[3,3,3,3] row_mask:0xf bank_mask:0xf// 00000002C048: 0B3736FA FF00FFFA
	v_mul_f32_dpp v156, v251, v156 quad_perm:[0,0,0,0] row_mask:0xf bank_mask:0xf// 00000002C050: 0B3938FA FF0000FB
	v_mul_f32_dpp v157, v251, v157 quad_perm:[1,1,1,1] row_mask:0xf bank_mask:0xf// 00000002C058: 0B3B3AFA FF0055FB
	v_mul_f32_dpp v158, v251, v158 quad_perm:[2,2,2,2] row_mask:0xf bank_mask:0xf// 00000002C060: 0B3D3CFA FF00AAFB
	v_mul_f32_dpp v159, v251, v159 quad_perm:[3,3,3,3] row_mask:0xf bank_mask:0xf// 00000002C068: 0B3F3EFA FF00FFFB
	s_cmp_le_i32 s90, s89                                      // 00000002C070: BF05595A
	s_cbranch_scc1 label_A80F                                  // 00000002C074: BF850071
	v_mov_b32_e32 v66, 0xff800000                              // 00000002C078: 7E8402FF FF800000
	s_mov_b32 s60, s90                                         // 00000002C080: BEBC005A
	s_add_u32 s61, s89, 0xff                                   // 00000002C084: 803DFF59 000000FF
	v_mov_b32_e32 v64, s61                                     // 00000002C08C: 7E80023D
	v_lshrrev_b32_e32 v240, 4, v0                              // 00000002C090: 21E00084
	v_mul_i32_i24_e32 v240, 4, v240                            // 00000002C094: 0DE1E084
	v_add_u32_e32 v240, s60, v240                              // 00000002C098: 69E1E03C
	s_mov_b32 s61, 2                                           // 00000002C09C: BEBD0082
	s_mul_i32 s60, 16, s7                                      // 00000002C0A0: 923C0790
	v_sub_u32_e64 v240, v240, s61                              // 00000002C0A4: D13500F0 00007BF0
	v_add_u32_e32 v240, s60, v240                              // 00000002C0AC: 69E1E03C
	v_add_u32_e32 v241, 1, v240                                // 00000002C0B0: 69E3E081
	v_add_u32_e32 v242, 2, v240                                // 00000002C0B4: 69E5E082
	v_add_u32_e32 v243, 3, v240                                // 00000002C0B8: 69E7E083
	v_cmp_le_u32_e64 s[40:41], v240, v64                       // 00000002C0BC: D0CB0028 000281F0
	v_add_u32_e32 v240, 64, v240                               // 00000002C0C4: 69E1E0C0
	s_nop 0                                                    // 00000002C0C8: BF800000
	v_cndmask_b32_e64 v144, v66, v144, s[40:41]                // 00000002C0CC: D1000090 00A32142
	v_cmp_le_u32_e64 s[40:41], v241, v64                       // 00000002C0D4: D0CB0028 000281F1
	v_add_u32_e32 v241, 64, v241                               // 00000002C0DC: 69E3E2C0
	s_nop 0                                                    // 00000002C0E0: BF800000
	v_cndmask_b32_e64 v145, v66, v145, s[40:41]                // 00000002C0E4: D1000091 00A32342
	v_cmp_le_u32_e64 s[40:41], v242, v64                       // 00000002C0EC: D0CB0028 000281F2
	v_add_u32_e32 v242, 64, v242                               // 00000002C0F4: 69E5E4C0
	s_nop 0                                                    // 00000002C0F8: BF800000
	v_cndmask_b32_e64 v146, v66, v146, s[40:41]                // 00000002C0FC: D1000092 00A32542
	v_cmp_le_u32_e64 s[40:41], v243, v64                       // 00000002C104: D0CB0028 000281F3
	v_add_u32_e32 v243, 64, v243                               // 00000002C10C: 69E7E6C0
	s_nop 0                                                    // 00000002C110: BF800000
	v_cndmask_b32_e64 v147, v66, v147, s[40:41]                // 00000002C114: D1000093 00A32742
	v_cmp_le_u32_e64 s[40:41], v240, v64                       // 00000002C11C: D0CB0028 000281F0
	v_add_u32_e32 v240, 64, v240                               // 00000002C124: 69E1E0C0
	s_nop 0                                                    // 00000002C128: BF800000
	v_cndmask_b32_e64 v148, v66, v148, s[40:41]                // 00000002C12C: D1000094 00A32942
	v_cmp_le_u32_e64 s[40:41], v241, v64                       // 00000002C134: D0CB0028 000281F1
	v_add_u32_e32 v241, 64, v241                               // 00000002C13C: 69E3E2C0
	s_nop 0                                                    // 00000002C140: BF800000
	v_cndmask_b32_e64 v149, v66, v149, s[40:41]                // 00000002C144: D1000095 00A32B42
	v_cmp_le_u32_e64 s[40:41], v242, v64                       // 00000002C14C: D0CB0028 000281F2
	v_add_u32_e32 v242, 64, v242                               // 00000002C154: 69E5E4C0
	s_nop 0                                                    // 00000002C158: BF800000
	v_cndmask_b32_e64 v150, v66, v150, s[40:41]                // 00000002C15C: D1000096 00A32D42
	v_cmp_le_u32_e64 s[40:41], v243, v64                       // 00000002C164: D0CB0028 000281F3
	v_add_u32_e32 v243, 64, v243                               // 00000002C16C: 69E7E6C0
	s_nop 0                                                    // 00000002C170: BF800000
	v_cndmask_b32_e64 v151, v66, v151, s[40:41]                // 00000002C174: D1000097 00A32F42
	v_cmp_le_u32_e64 s[40:41], v240, v64                       // 00000002C17C: D0CB0028 000281F0
	v_add_u32_e32 v240, 64, v240                               // 00000002C184: 69E1E0C0
	s_nop 0                                                    // 00000002C188: BF800000
	v_cndmask_b32_e64 v152, v66, v152, s[40:41]                // 00000002C18C: D1000098 00A33142
	v_cmp_le_u32_e64 s[40:41], v241, v64                       // 00000002C194: D0CB0028 000281F1
	v_add_u32_e32 v241, 64, v241                               // 00000002C19C: 69E3E2C0
	s_nop 0                                                    // 00000002C1A0: BF800000
	v_cndmask_b32_e64 v153, v66, v153, s[40:41]                // 00000002C1A4: D1000099 00A33342
	v_cmp_le_u32_e64 s[40:41], v242, v64                       // 00000002C1AC: D0CB0028 000281F2
	v_add_u32_e32 v242, 64, v242                               // 00000002C1B4: 69E5E4C0
	s_nop 0                                                    // 00000002C1B8: BF800000
	v_cndmask_b32_e64 v154, v66, v154, s[40:41]                // 00000002C1BC: D100009A 00A33542
	v_cmp_le_u32_e64 s[40:41], v243, v64                       // 00000002C1C4: D0CB0028 000281F3
	v_add_u32_e32 v243, 64, v243                               // 00000002C1CC: 69E7E6C0
	s_nop 0                                                    // 00000002C1D0: BF800000
	v_cndmask_b32_e64 v155, v66, v155, s[40:41]                // 00000002C1D4: D100009B 00A33742
	v_cmp_le_u32_e64 s[40:41], v240, v64                       // 00000002C1DC: D0CB0028 000281F0
	v_add_u32_e32 v240, 64, v240                               // 00000002C1E4: 69E1E0C0
	s_nop 0                                                    // 00000002C1E8: BF800000
	v_cndmask_b32_e64 v156, v66, v156, s[40:41]                // 00000002C1EC: D100009C 00A33942
	v_cmp_le_u32_e64 s[40:41], v241, v64                       // 00000002C1F4: D0CB0028 000281F1
	v_add_u32_e32 v241, 64, v241                               // 00000002C1FC: 69E3E2C0
	s_nop 0                                                    // 00000002C200: BF800000
	v_cndmask_b32_e64 v157, v66, v157, s[40:41]                // 00000002C204: D100009D 00A33B42
	v_cmp_le_u32_e64 s[40:41], v242, v64                       // 00000002C20C: D0CB0028 000281F2
	v_add_u32_e32 v242, 64, v242                               // 00000002C214: 69E5E4C0
	s_nop 0                                                    // 00000002C218: BF800000
	v_cndmask_b32_e64 v158, v66, v158, s[40:41]                // 00000002C21C: D100009E 00A33D42
	v_cmp_le_u32_e64 s[40:41], v243, v64                       // 00000002C224: D0CB0028 000281F3
	v_add_u32_e32 v243, 64, v243                               // 00000002C22C: 69E7E6C0
	s_nop 0                                                    // 00000002C230: BF800000
	v_cndmask_b32_e64 v159, v66, v159, s[40:41]                // 00000002C234: D100009F 00A33F42

000000000002c23c <label_A80F>:
	s_and_b32 s60, s72, 0xff                                   // 00000002C23C: 863CFF48 000000FF
	v_mov_b32_e32 v65, s60                                     // 00000002C244: 7E82023C
	v_lshrrev_b32_e32 v240, 4, v0                              // 00000002C248: 21E00084
	v_mul_i32_i24_e32 v240, 4, v240                            // 00000002C24C: 0DE1E084
	s_mul_i32 s60, s7, 16                                      // 00000002C250: 923C9007
	v_add_u32_e32 v240, s60, v240                              // 00000002C254: 69E1E03C
	v_add_u32_e32 v241, 1, v240                                // 00000002C258: 69E3E081
	v_add_u32_e32 v242, 2, v240                                // 00000002C25C: 69E5E082
	v_add_u32_e32 v243, 3, v240                                // 00000002C260: 69E7E083
	v_mov_b32_e32 v64, 0xff800000                              // 00000002C264: 7E8002FF FF800000
	v_cmp_lt_u32_e64 s[40:41], v240, v65                       // 00000002C26C: D0C90028 000283F0
	v_add_u32_e32 v240, 64, v240                               // 00000002C274: 69E1E0C0
	s_nop 0                                                    // 00000002C278: BF800000
	v_cndmask_b32_e64 v144, v64, v144, s[40:41]                // 00000002C27C: D1000090 00A32140
	v_cmp_lt_u32_e64 s[40:41], v241, v65                       // 00000002C284: D0C90028 000283F1
	v_add_u32_e32 v241, 64, v241                               // 00000002C28C: 69E3E2C0
	s_nop 0                                                    // 00000002C290: BF800000
	v_cndmask_b32_e64 v145, v64, v145, s[40:41]                // 00000002C294: D1000091 00A32340
	v_cmp_lt_u32_e64 s[40:41], v242, v65                       // 00000002C29C: D0C90028 000283F2
	v_add_u32_e32 v242, 64, v242                               // 00000002C2A4: 69E5E4C0
	s_nop 0                                                    // 00000002C2A8: BF800000
	v_cndmask_b32_e64 v146, v64, v146, s[40:41]                // 00000002C2AC: D1000092 00A32540
	v_cmp_lt_u32_e64 s[40:41], v243, v65                       // 00000002C2B4: D0C90028 000283F3
	v_add_u32_e32 v243, 64, v243                               // 00000002C2BC: 69E7E6C0
	s_nop 0                                                    // 00000002C2C0: BF800000
	v_cndmask_b32_e64 v147, v64, v147, s[40:41]                // 00000002C2C4: D1000093 00A32740
	v_cmp_lt_u32_e64 s[40:41], v240, v65                       // 00000002C2CC: D0C90028 000283F0
	v_add_u32_e32 v240, 64, v240                               // 00000002C2D4: 69E1E0C0
	s_nop 0                                                    // 00000002C2D8: BF800000
	v_cndmask_b32_e64 v148, v64, v148, s[40:41]                // 00000002C2DC: D1000094 00A32940
	v_cmp_lt_u32_e64 s[40:41], v241, v65                       // 00000002C2E4: D0C90028 000283F1
	v_add_u32_e32 v241, 64, v241                               // 00000002C2EC: 69E3E2C0
	s_nop 0                                                    // 00000002C2F0: BF800000
	v_cndmask_b32_e64 v149, v64, v149, s[40:41]                // 00000002C2F4: D1000095 00A32B40
	v_cmp_lt_u32_e64 s[40:41], v242, v65                       // 00000002C2FC: D0C90028 000283F2
	v_add_u32_e32 v242, 64, v242                               // 00000002C304: 69E5E4C0
	s_nop 0                                                    // 00000002C308: BF800000
	v_cndmask_b32_e64 v150, v64, v150, s[40:41]                // 00000002C30C: D1000096 00A32D40
	v_cmp_lt_u32_e64 s[40:41], v243, v65                       // 00000002C314: D0C90028 000283F3
	v_add_u32_e32 v243, 64, v243                               // 00000002C31C: 69E7E6C0
	s_nop 0                                                    // 00000002C320: BF800000
	v_cndmask_b32_e64 v151, v64, v151, s[40:41]                // 00000002C324: D1000097 00A32F40
	v_cmp_lt_u32_e64 s[40:41], v240, v65                       // 00000002C32C: D0C90028 000283F0
	v_add_u32_e32 v240, 64, v240                               // 00000002C334: 69E1E0C0
	s_nop 0                                                    // 00000002C338: BF800000
	v_cndmask_b32_e64 v152, v64, v152, s[40:41]                // 00000002C33C: D1000098 00A33140
	v_cmp_lt_u32_e64 s[40:41], v241, v65                       // 00000002C344: D0C90028 000283F1
	v_add_u32_e32 v241, 64, v241                               // 00000002C34C: 69E3E2C0
	s_nop 0                                                    // 00000002C350: BF800000
	v_cndmask_b32_e64 v153, v64, v153, s[40:41]                // 00000002C354: D1000099 00A33340
	v_cmp_lt_u32_e64 s[40:41], v242, v65                       // 00000002C35C: D0C90028 000283F2
	v_add_u32_e32 v242, 64, v242                               // 00000002C364: 69E5E4C0
	s_nop 0                                                    // 00000002C368: BF800000
	v_cndmask_b32_e64 v154, v64, v154, s[40:41]                // 00000002C36C: D100009A 00A33540
	v_cmp_lt_u32_e64 s[40:41], v243, v65                       // 00000002C374: D0C90028 000283F3
	v_add_u32_e32 v243, 64, v243                               // 00000002C37C: 69E7E6C0
	s_nop 0                                                    // 00000002C380: BF800000
	v_cndmask_b32_e64 v155, v64, v155, s[40:41]                // 00000002C384: D100009B 00A33740
	v_cmp_lt_u32_e64 s[40:41], v240, v65                       // 00000002C38C: D0C90028 000283F0
	v_add_u32_e32 v240, 64, v240                               // 00000002C394: 69E1E0C0
	s_nop 0                                                    // 00000002C398: BF800000
	v_cndmask_b32_e64 v156, v64, v156, s[40:41]                // 00000002C39C: D100009C 00A33940
	v_cmp_lt_u32_e64 s[40:41], v241, v65                       // 00000002C3A4: D0C90028 000283F1
	v_add_u32_e32 v241, 64, v241                               // 00000002C3AC: 69E3E2C0
	s_nop 0                                                    // 00000002C3B0: BF800000
	v_cndmask_b32_e64 v157, v64, v157, s[40:41]                // 00000002C3B4: D100009D 00A33B40
	v_cmp_lt_u32_e64 s[40:41], v242, v65                       // 00000002C3BC: D0C90028 000283F2
	v_add_u32_e32 v242, 64, v242                               // 00000002C3C4: 69E5E4C0
	s_nop 0                                                    // 00000002C3C8: BF800000
	v_cndmask_b32_e64 v158, v64, v158, s[40:41]                // 00000002C3CC: D100009E 00A33D40
	v_cmp_lt_u32_e64 s[40:41], v243, v65                       // 00000002C3D4: D0C90028 000283F3
	v_add_u32_e32 v243, 64, v243                               // 00000002C3DC: 69E7E6C0
	s_nop 0                                                    // 00000002C3E0: BF800000
	v_cndmask_b32_e64 v159, v64, v159, s[40:41]                // 00000002C3E4: D100009F 00A33F40
	v_mov_b32_e32 v48, v144                                    // 00000002C3EC: 7E600390
	v_max3_f32 v48, v144, v145, v48                            // 00000002C3F0: D1D30030 04C32390
	v_max3_f32 v48, v146, v147, v48                            // 00000002C3F8: D1D30030 04C32792
	v_max3_f32 v48, v148, v149, v48                            // 00000002C400: D1D30030 04C32B94
	v_max3_f32 v48, v150, v151, v48                            // 00000002C408: D1D30030 04C32F96
	v_max3_f32 v48, v152, v153, v48                            // 00000002C410: D1D30030 04C33398
	v_max3_f32 v48, v154, v155, v48                            // 00000002C418: D1D30030 04C3379A
	v_max3_f32 v48, v156, v157, v48                            // 00000002C420: D1D30030 04C33B9C
	v_max3_f32 v48, v158, v159, v48                            // 00000002C428: D1D30030 04C33F9E
	ds_write_b32 v8, v48 offset:16896                          // 00000002C430: D81A4200 00003008
	v_mul_f32_e32 v224, v51, v224                              // 00000002C438: 0BC1C133
	v_mul_f32_e32 v225, v51, v225                              // 00000002C43C: 0BC3C333
	v_mul_f32_e32 v226, v51, v226                              // 00000002C440: 0BC5C533
	v_mul_f32_e32 v227, v51, v227                              // 00000002C444: 0BC7C733
	v_mul_f32_e32 v228, v51, v228                              // 00000002C448: 0BC9C933
	v_mul_f32_e32 v229, v51, v229                              // 00000002C44C: 0BCBCB33
	v_mul_f32_e32 v230, v51, v230                              // 00000002C450: 0BCDCD33
	v_mul_f32_e32 v231, v51, v231                              // 00000002C454: 0BCFCF33
	s_waitcnt lgkmcnt(0)                                       // 00000002C458: BF8CC07F
	s_barrier                                                  // 00000002C45C: BF8A0000
	ds_read_b32 v64, v7 offset:16896                           // 00000002C460: D86C4200 40000007
	ds_read_b32 v65, v7 offset:16960                           // 00000002C468: D86C4240 41000007
	ds_read_b32 v66, v7 offset:17024                           // 00000002C470: D86C4280 42000007
	ds_read_b32 v67, v7 offset:17088                           // 00000002C478: D86C42C0 43000007
	ds_read_b32 v68, v7 offset:17152                           // 00000002C480: D86C4300 44000007
	ds_read_b32 v69, v7 offset:17216                           // 00000002C488: D86C4340 45000007
	ds_read_b32 v70, v7 offset:17280                           // 00000002C490: D86C4380 46000007
	ds_read_b32 v71, v7 offset:17344                           // 00000002C498: D86C43C0 47000007
	ds_read_b32 v72, v7 offset:17408                           // 00000002C4A0: D86C4400 48000007
	ds_read_b32 v73, v7 offset:17472                           // 00000002C4A8: D86C4440 49000007
	ds_read_b32 v74, v7 offset:17536                           // 00000002C4B0: D86C4480 4A000007
	ds_read_b32 v75, v7 offset:17600                           // 00000002C4B8: D86C44C0 4B000007
	ds_read_b32 v76, v7 offset:17664                           // 00000002C4C0: D86C4500 4C000007
	ds_read_b32 v77, v7 offset:17728                           // 00000002C4C8: D86C4540 4D000007
	ds_read_b32 v78, v7 offset:17792                           // 00000002C4D0: D86C4580 4E000007
	ds_read_b32 v79, v7 offset:17856                           // 00000002C4D8: D86C45C0 4F000007
	v_cvt_f32_i32_e32 v192, v192                               // 00000002C4E0: 7F800BC0
	v_cvt_f32_i32_e32 v193, v193                               // 00000002C4E4: 7F820BC1
	v_cvt_f32_i32_e32 v194, v194                               // 00000002C4E8: 7F840BC2
	v_cvt_f32_i32_e32 v195, v195                               // 00000002C4EC: 7F860BC3
	v_cvt_f32_i32_e32 v196, v196                               // 00000002C4F0: 7F880BC4
	v_cvt_f32_i32_e32 v197, v197                               // 00000002C4F4: 7F8A0BC5
	v_cvt_f32_i32_e32 v198, v198                               // 00000002C4F8: 7F8C0BC6
	v_cvt_f32_i32_e32 v199, v199                               // 00000002C4FC: 7F8E0BC7
	v_mul_f32_e32 v192, v46, v192                              // 00000002C500: 0B81812E
	v_mul_f32_e32 v193, v46, v193                              // 00000002C504: 0B83832E
	v_mul_f32_e32 v194, v46, v194                              // 00000002C508: 0B85852E
	v_mul_f32_e32 v195, v46, v195                              // 00000002C50C: 0B87872E
	v_mul_f32_e32 v196, v46, v196                              // 00000002C510: 0B89892E
	v_mul_f32_e32 v197, v46, v197                              // 00000002C514: 0B8B8B2E
	v_mul_f32_e32 v198, v46, v198                              // 00000002C518: 0B8D8D2E
	v_mul_f32_e32 v199, v46, v199                              // 00000002C51C: 0B8F8F2E
	s_waitcnt lgkmcnt(0)                                       // 00000002C520: BF8CC07F
	v_max3_f32 v48, v64, v65, v48                              // 00000002C524: D1D30030 04C28340
	v_max3_f32 v48, v66, v67, v48                              // 00000002C52C: D1D30030 04C28742
	v_max3_f32 v48, v68, v69, v48                              // 00000002C534: D1D30030 04C28B44
	v_max3_f32 v48, v70, v71, v48                              // 00000002C53C: D1D30030 04C28F46
	v_max3_f32 v48, v72, v73, v48                              // 00000002C544: D1D30030 04C29348
	v_max3_f32 v48, v74, v75, v48                              // 00000002C54C: D1D30030 04C2974A
	v_max3_f32 v48, v76, v77, v48                              // 00000002C554: D1D30030 04C29B4C
	v_max3_f32 v48, v78, v79, v48                              // 00000002C55C: D1D30030 04C29F4E
	v_mov_b32_e32 v64, 0xff800000                              // 00000002C564: 7E8002FF FF800000
	v_cmp_eq_u32_e64 s[40:41], v64, v13                        // 00000002C56C: D0CA0028 00021B40
	s_nop 1                                                    // 00000002C574: BF800001
	v_max_f32_e32 v15, v48, v13                                // 00000002C578: 161E1B30
	v_mul_f32_e32 v53, s64, v15                                // 00000002C57C: 0A6A1E40
	v_fma_f32 v144, v144, s64, -v53                            // 00000002C580: D1CB0090 84D48190
	v_fma_f32 v145, v145, s64, -v53                            // 00000002C588: D1CB0091 84D48191
	v_fma_f32 v146, v146, s64, -v53                            // 00000002C590: D1CB0092 84D48192
	v_fma_f32 v147, v147, s64, -v53                            // 00000002C598: D1CB0093 84D48193
	v_fma_f32 v148, v148, s64, -v53                            // 00000002C5A0: D1CB0094 84D48194
	v_fma_f32 v149, v149, s64, -v53                            // 00000002C5A8: D1CB0095 84D48195
	v_fma_f32 v150, v150, s64, -v53                            // 00000002C5B0: D1CB0096 84D48196
	v_fma_f32 v151, v151, s64, -v53                            // 00000002C5B8: D1CB0097 84D48197
	v_fma_f32 v152, v152, s64, -v53                            // 00000002C5C0: D1CB0098 84D48198
	v_fma_f32 v153, v153, s64, -v53                            // 00000002C5C8: D1CB0099 84D48199
	v_fma_f32 v154, v154, s64, -v53                            // 00000002C5D0: D1CB009A 84D4819A
	v_fma_f32 v155, v155, s64, -v53                            // 00000002C5D8: D1CB009B 84D4819B
	v_fma_f32 v156, v156, s64, -v53                            // 00000002C5E0: D1CB009C 84D4819C
	v_fma_f32 v157, v157, s64, -v53                            // 00000002C5E8: D1CB009D 84D4819D
	v_fma_f32 v158, v158, s64, -v53                            // 00000002C5F0: D1CB009E 84D4819E
	v_fma_f32 v159, v159, s64, -v53                            // 00000002C5F8: D1CB009F 84D4819F
	v_exp_f32_e32 v144, v144                                   // 00000002C600: 7F204190
	v_exp_f32_e32 v145, v145                                   // 00000002C604: 7F224191
	v_exp_f32_e32 v146, v146                                   // 00000002C608: 7F244192
	v_exp_f32_e32 v147, v147                                   // 00000002C60C: 7F264193
	v_exp_f32_e32 v148, v148                                   // 00000002C610: 7F284194
	v_exp_f32_e32 v149, v149                                   // 00000002C614: 7F2A4195
	v_exp_f32_e32 v150, v150                                   // 00000002C618: 7F2C4196
	v_exp_f32_e32 v151, v151                                   // 00000002C61C: 7F2E4197
	v_exp_f32_e32 v152, v152                                   // 00000002C620: 7F304198
	v_exp_f32_e32 v153, v153                                   // 00000002C624: 7F324199
	v_exp_f32_e32 v154, v154                                   // 00000002C628: 7F34419A
	v_exp_f32_e32 v155, v155                                   // 00000002C62C: 7F36419B
	v_exp_f32_e32 v156, v156                                   // 00000002C630: 7F38419C
	v_exp_f32_e32 v157, v157                                   // 00000002C634: 7F3A419D
	v_exp_f32_e32 v158, v158                                   // 00000002C638: 7F3C419E
	v_exp_f32_e32 v159, v159                                   // 00000002C63C: 7F3E419F
	v_mul_f32_dpp v240, v252, v144 quad_perm:[0,0,0,0] row_mask:0xf bank_mask:0xf// 00000002C640: 0BE120FA FF0000FC
	v_mul_f32_dpp v241, v252, v145 quad_perm:[1,1,1,1] row_mask:0xf bank_mask:0xf// 00000002C648: 0BE322FA FF0055FC
	v_mul_f32_dpp v242, v252, v146 quad_perm:[2,2,2,2] row_mask:0xf bank_mask:0xf// 00000002C650: 0BE524FA FF00AAFC
	v_mul_f32_dpp v243, v252, v147 quad_perm:[3,3,3,3] row_mask:0xf bank_mask:0xf// 00000002C658: 0BE726FA FF00FFFC
	v_mul_f32_dpp v244, v253, v148 quad_perm:[0,0,0,0] row_mask:0xf bank_mask:0xf// 00000002C660: 0BE928FA FF0000FD
	v_mul_f32_dpp v245, v253, v149 quad_perm:[1,1,1,1] row_mask:0xf bank_mask:0xf// 00000002C668: 0BEB2AFA FF0055FD
	v_mul_f32_dpp v246, v253, v150 quad_perm:[2,2,2,2] row_mask:0xf bank_mask:0xf// 00000002C670: 0BED2CFA FF00AAFD
	v_mul_f32_dpp v247, v253, v151 quad_perm:[3,3,3,3] row_mask:0xf bank_mask:0xf// 00000002C678: 0BEF2EFA FF00FFFD
	v_mul_f32_dpp v248, v254, v152 quad_perm:[0,0,0,0] row_mask:0xf bank_mask:0xf// 00000002C680: 0BF130FA FF0000FE
	v_mul_f32_dpp v249, v254, v153 quad_perm:[1,1,1,1] row_mask:0xf bank_mask:0xf// 00000002C688: 0BF332FA FF0055FE
	v_mul_f32_dpp v250, v254, v154 quad_perm:[2,2,2,2] row_mask:0xf bank_mask:0xf// 00000002C690: 0BF534FA FF00AAFE
	v_mul_f32_dpp v251, v254, v155 quad_perm:[3,3,3,3] row_mask:0xf bank_mask:0xf// 00000002C698: 0BF736FA FF00FFFE
	v_mul_f32_dpp v252, v255, v156 quad_perm:[0,0,0,0] row_mask:0xf bank_mask:0xf// 00000002C6A0: 0BF938FA FF0000FF
	v_mul_f32_dpp v253, v255, v157 quad_perm:[1,1,1,1] row_mask:0xf bank_mask:0xf// 00000002C6A8: 0BFB3AFA FF0055FF
	v_mul_f32_dpp v254, v255, v158 quad_perm:[2,2,2,2] row_mask:0xf bank_mask:0xf// 00000002C6B0: 0BFD3CFA FF00AAFF
	v_mul_f32_dpp v255, v255, v159 quad_perm:[3,3,3,3] row_mask:0xf bank_mask:0xf// 00000002C6B8: 0BFF3EFA FF00FFFF
	v_mov_b32_e32 v48, 0x358637bd                              // 00000002C6C0: 7E6002FF 358637BD
	v_max3_f32 v48, |v240|, |v241|, v48                        // 00000002C6C8: D1D30330 04C3E3F0
	v_max3_f32 v48, |v242|, |v243|, v48                        // 00000002C6D0: D1D30330 04C3E7F2
	v_max3_f32 v48, |v244|, |v245|, v48                        // 00000002C6D8: D1D30330 04C3EBF4
	v_max3_f32 v48, |v246|, |v247|, v48                        // 00000002C6E0: D1D30330 04C3EFF6
	v_max3_f32 v48, |v248|, |v249|, v48                        // 00000002C6E8: D1D30330 04C3F3F8
	v_max3_f32 v48, |v250|, |v251|, v48                        // 00000002C6F0: D1D30330 04C3F7FA
	v_max3_f32 v48, |v252|, |v253|, v48                        // 00000002C6F8: D1D30330 04C3FBFC
	v_max3_f32 v48, |v254|, |v255|, v48                        // 00000002C700: D1D30330 04C3FFFE
	ds_write_b32 v8, v48 offset:20992                          // 00000002C708: D81A5200 00003008
	v_sub_f32_e32 v51, v13, v15                                // 00000002C710: 04661F0D
	v_cndmask_b32_e64 v51, v51, 0, s[40:41]                    // 00000002C714: D1000033 00A10133
	v_mov_b32_e32 v13, v15                                     // 00000002C71C: 7E1A030F
	v_mul_f32_e32 v51, s64, v51                                // 00000002C720: 0A666640
	v_exp_f32_e32 v51, v51                                     // 00000002C724: 7E664133
	s_waitcnt lgkmcnt(0)                                       // 00000002C728: BF8CC07F
	s_barrier                                                  // 00000002C72C: BF8A0000
	ds_read_b32 v64, v7 offset:20992                           // 00000002C730: D86C5200 40000007
	ds_read_b32 v65, v7 offset:21056                           // 00000002C738: D86C5240 41000007
	ds_read_b32 v66, v7 offset:21120                           // 00000002C740: D86C5280 42000007
	ds_read_b32 v67, v7 offset:21184                           // 00000002C748: D86C52C0 43000007
	ds_read_b32 v68, v7 offset:21248                           // 00000002C750: D86C5300 44000007
	ds_read_b32 v69, v7 offset:21312                           // 00000002C758: D86C5340 45000007
	ds_read_b32 v70, v7 offset:21376                           // 00000002C760: D86C5380 46000007
	ds_read_b32 v71, v7 offset:21440                           // 00000002C768: D86C53C0 47000007
	ds_read_b32 v72, v7 offset:21504                           // 00000002C770: D86C5400 48000007
	ds_read_b32 v73, v7 offset:21568                           // 00000002C778: D86C5440 49000007
	ds_read_b32 v74, v7 offset:21632                           // 00000002C780: D86C5480 4A000007
	ds_read_b32 v75, v7 offset:21696                           // 00000002C788: D86C54C0 4B000007
	ds_read_b32 v76, v7 offset:21760                           // 00000002C790: D86C5500 4C000007
	ds_read_b32 v77, v7 offset:21824                           // 00000002C798: D86C5540 4D000007
	ds_read_b32 v78, v7 offset:21888                           // 00000002C7A0: D86C5580 4E000007
	ds_read_b32 v79, v7 offset:21952                           // 00000002C7A8: D86C55C0 4F000007
	v_mul_f32_e32 v40, v51, v40                                // 00000002C7B0: 0A505133
	v_mov_b32_e32 v15, v144                                    // 00000002C7B4: 7E1E0390
	v_add_f32_e32 v15, v145, v15                               // 00000002C7B8: 021E1F91
	v_add_f32_e32 v15, v146, v15                               // 00000002C7BC: 021E1F92
	v_add_f32_e32 v15, v147, v15                               // 00000002C7C0: 021E1F93
	v_add_f32_e32 v15, v148, v15                               // 00000002C7C4: 021E1F94
	v_add_f32_e32 v15, v149, v15                               // 00000002C7C8: 021E1F95
	v_add_f32_e32 v15, v150, v15                               // 00000002C7CC: 021E1F96
	v_add_f32_e32 v15, v151, v15                               // 00000002C7D0: 021E1F97
	v_add_f32_e32 v15, v152, v15                               // 00000002C7D4: 021E1F98
	v_add_f32_e32 v15, v153, v15                               // 00000002C7D8: 021E1F99
	v_add_f32_e32 v15, v154, v15                               // 00000002C7DC: 021E1F9A
	v_add_f32_e32 v15, v155, v15                               // 00000002C7E0: 021E1F9B
	v_add_f32_e32 v15, v156, v15                               // 00000002C7E4: 021E1F9C
	v_add_f32_e32 v15, v157, v15                               // 00000002C7E8: 021E1F9D
	v_add_f32_e32 v15, v158, v15                               // 00000002C7EC: 021E1F9E
	v_add_f32_e32 v15, v159, v15                               // 00000002C7F0: 021E1F9F
	v_add_f32_e32 v40, v15, v40                                // 00000002C7F4: 0250510F
	s_waitcnt lgkmcnt(0)                                       // 00000002C7F8: BF8CC07F
	v_max3_f32 v48, |v64|, |v65|, v48                          // 00000002C7FC: D1D30330 04C28340
	v_max3_f32 v48, |v66|, |v67|, v48                          // 00000002C804: D1D30330 04C28742
	v_max3_f32 v48, |v68|, |v69|, v48                          // 00000002C80C: D1D30330 04C28B44
	v_max3_f32 v48, |v70|, |v71|, v48                          // 00000002C814: D1D30330 04C28F46
	v_max3_f32 v48, |v72|, |v73|, v48                          // 00000002C81C: D1D30330 04C29348
	v_max3_f32 v48, |v74|, |v75|, v48                          // 00000002C824: D1D30330 04C2974A
	v_max3_f32 v48, |v76|, |v77|, v48                          // 00000002C82C: D1D30330 04C29B4C
	v_max3_f32 v48, |v78|, |v79|, v48                          // 00000002C834: D1D30330 04C29F4E
	s_nop 2                                                    // 00000002C83C: BF800002
	v_rcp_f32_e32 v48, v48                                     // 00000002C840: 7E604530
	s_nop 1                                                    // 00000002C844: BF800001
	v_mul_f32_e32 v48, 0x42fe0000, v48                         // 00000002C848: 0A6060FF 42FE0000
	v_mul_f32_e32 v144, v48, v240                              // 00000002C850: 0B21E130
	v_mul_f32_e32 v145, v48, v241                              // 00000002C854: 0B23E330
	v_mul_f32_e32 v146, v48, v242                              // 00000002C858: 0B25E530
	v_mul_f32_e32 v147, v48, v243                              // 00000002C85C: 0B27E730
	v_mul_f32_e32 v148, v48, v244                              // 00000002C860: 0B29E930
	v_mul_f32_e32 v149, v48, v245                              // 00000002C864: 0B2BEB30
	v_mul_f32_e32 v150, v48, v246                              // 00000002C868: 0B2DED30
	v_mul_f32_e32 v151, v48, v247                              // 00000002C86C: 0B2FEF30
	v_mul_f32_e32 v152, v48, v248                              // 00000002C870: 0B31F130
	v_mul_f32_e32 v153, v48, v249                              // 00000002C874: 0B33F330
	v_mul_f32_e32 v154, v48, v250                              // 00000002C878: 0B35F530
	v_mul_f32_e32 v155, v48, v251                              // 00000002C87C: 0B37F730
	v_mul_f32_e32 v156, v48, v252                              // 00000002C880: 0B39F930
	v_mul_f32_e32 v157, v48, v253                              // 00000002C884: 0B3BFB30
	v_mul_f32_e32 v158, v48, v254                              // 00000002C888: 0B3DFD30
	v_mul_f32_e32 v159, v48, v255                              // 00000002C88C: 0B3FFF30
	v_cvt_i32_f32_e32 v144, v144                               // 00000002C890: 7F201190
	v_cvt_i32_f32_e32 v145, v145                               // 00000002C894: 7F221191
	v_cvt_i32_f32_e32 v146, v146                               // 00000002C898: 7F241192
	v_cvt_i32_f32_e32 v147, v147                               // 00000002C89C: 7F261193
	v_cvt_i32_f32_e32 v148, v148                               // 00000002C8A0: 7F281194
	v_cvt_i32_f32_e32 v149, v149                               // 00000002C8A4: 7F2A1195
	v_cvt_i32_f32_e32 v150, v150                               // 00000002C8A8: 7F2C1196
	v_cvt_i32_f32_e32 v151, v151                               // 00000002C8AC: 7F2E1197
	v_cvt_i32_f32_e32 v152, v152                               // 00000002C8B0: 7F301198
	v_cvt_i32_f32_e32 v153, v153                               // 00000002C8B4: 7F321199
	v_cvt_i32_f32_e32 v154, v154                               // 00000002C8B8: 7F34119A
	v_cvt_i32_f32_e32 v155, v155                               // 00000002C8BC: 7F36119B
	v_cvt_i32_f32_e32 v156, v156                               // 00000002C8C0: 7F38119C
	v_cvt_i32_f32_e32 v157, v157                               // 00000002C8C4: 7F3A119D
	v_cvt_i32_f32_e32 v158, v158                               // 00000002C8C8: 7F3C119E
	v_cvt_i32_f32_e32 v159, v159                               // 00000002C8CC: 7F3E119F
	v_perm_b32 v144, v145, v144, s53                           // 00000002C8D0: D1ED0090 00D72191
	v_perm_b32 v144, v146, v144, s54                           // 00000002C8D8: D1ED0090 00DB2192
	v_perm_b32 v144, v147, v144, s55                           // 00000002C8E0: D1ED0090 00DF2193
	v_perm_b32 v145, v149, v148, s53                           // 00000002C8E8: D1ED0091 00D72995
	v_perm_b32 v145, v150, v145, s54                           // 00000002C8F0: D1ED0091 00DB2396
	v_perm_b32 v145, v151, v145, s55                           // 00000002C8F8: D1ED0091 00DF2397
	v_perm_b32 v146, v153, v152, s53                           // 00000002C900: D1ED0092 00D73199
	v_perm_b32 v146, v154, v146, s54                           // 00000002C908: D1ED0092 00DB259A
	v_perm_b32 v146, v155, v146, s55                           // 00000002C910: D1ED0092 00DF259B
	v_perm_b32 v147, v157, v156, s53                           // 00000002C918: D1ED0093 00D7399D
	v_perm_b32 v147, v158, v147, s54                           // 00000002C920: D1ED0093 00DB279E
	v_perm_b32 v147, v159, v147, s55                           // 00000002C928: D1ED0093 00DF279F
	ds_write_b32 v10, v144 offset:33280                        // 00000002C930: D81A8200 0000900A
	ds_write_b32 v10, v145 offset:34304                        // 00000002C938: D81A8600 0000910A
	ds_write_b32 v10, v146 offset:35328                        // 00000002C940: D81A8A00 0000920A
	ds_write_b32 v10, v147 offset:36352                        // 00000002C948: D81A8E00 0000930A
	v_add_f32_e32 v224, v224, v192                             // 00000002C950: 03C181E0
	v_add_f32_e32 v225, v225, v193                             // 00000002C954: 03C383E1
	v_add_f32_e32 v226, v226, v194                             // 00000002C958: 03C585E2
	v_add_f32_e32 v227, v227, v195                             // 00000002C95C: 03C787E3
	v_add_f32_e32 v228, v228, v196                             // 00000002C960: 03C989E4
	v_add_f32_e32 v229, v229, v197                             // 00000002C964: 03CB8BE5
	v_add_f32_e32 v230, v230, v198                             // 00000002C968: 03CD8DE6
	v_add_f32_e32 v231, v231, v199                             // 00000002C96C: 03CF8FE7
	v_rcp_f32_e32 v46, v48                                     // 00000002C970: 7E5C4530
	s_waitcnt lgkmcnt(0)                                       // 00000002C974: BF8CC07F
	s_barrier                                                  // 00000002C978: BF8A0000
	ds_read_b64 v[144:145], v9 offset:33280                    // 00000002C97C: D8EC8200 90000009
	ds_read_b64 v[146:147], v9 offset:33408                    // 00000002C984: D8EC8280 92000009
	ds_read_b64 v[148:149], v9 offset:34304                    // 00000002C98C: D8EC8600 94000009
	ds_read_b64 v[150:151], v9 offset:34432                    // 00000002C994: D8EC8680 96000009
	ds_read_b64 v[152:153], v9 offset:35328                    // 00000002C99C: D8EC8A00 98000009
	ds_read_b64 v[154:155], v9 offset:35456                    // 00000002C9A4: D8EC8A80 9A000009
	ds_read_b64 v[156:157], v9 offset:36352                    // 00000002C9AC: D8EC8E00 9C000009
	ds_read_b64 v[158:159], v9 offset:36480                    // 00000002C9B4: D8EC8E80 9E000009
	v_mov_b32_dpp v64, v42 row_shr:4 row_mask:0xf bank_mask:0xf// 00000002C9BC: 7E8002FA FF01142A
	v_mov_b32_dpp v65, v42 row_shl:4 row_mask:0xf bank_mask:0xf// 00000002C9C4: 7E8202FA FF01042A
	v_cndmask_b32_e64 v248, v42, v64, s[44:45]                 // 00000002C9CC: D10000F8 00B2812A
	v_cndmask_b32_e64 v249, v65, v42, s[44:45]                 // 00000002C9D4: D10000F9 00B25541
	v_mov_b32_dpp v64, v248 row_shr:8 row_mask:0xf bank_mask:0xf// 00000002C9DC: 7E8002FA FF0118F8
	v_mov_b32_dpp v65, v248 row_shl:8 row_mask:0xf bank_mask:0xf// 00000002C9E4: 7E8202FA FF0108F8
	v_mov_b32_dpp v66, v249 row_shr:8 row_mask:0xf bank_mask:0xf// 00000002C9EC: 7E8402FA FF0118F9
	v_mov_b32_dpp v67, v249 row_shl:8 row_mask:0xf bank_mask:0xf// 00000002C9F4: 7E8602FA FF0108F9
	v_mov_b32_e32 v68, v248                                    // 00000002C9FC: 7E8803F8
	v_mov_b32_e32 v69, v249                                    // 00000002CA00: 7E8A03F9
	v_cndmask_b32_e64 v248, v68, v64, s[42:43]                 // 00000002CA04: D10000F8 00AA8144
	v_cndmask_b32_e64 v250, v68, v65, s[78:79]                 // 00000002CA0C: D10000FA 013A8344
	v_cndmask_b32_e64 v249, v69, v66, s[42:43]                 // 00000002CA14: D10000F9 00AA8545
	v_cndmask_b32_e64 v251, v69, v67, s[78:79]                 // 00000002CA1C: D10000FB 013A8745
	v_mov_b32_dpp v64, v57 row_shr:4 row_mask:0xf bank_mask:0xf// 00000002CA24: 7E8002FA FF011439
	v_mov_b32_dpp v65, v57 row_shl:4 row_mask:0xf bank_mask:0xf// 00000002CA2C: 7E8202FA FF010439
	v_cndmask_b32_e64 v252, v57, v64, s[44:45]                 // 00000002CA34: D10000FC 00B28139
	v_cndmask_b32_e64 v253, v65, v57, s[44:45]                 // 00000002CA3C: D10000FD 00B27341
	v_mov_b32_dpp v64, v252 row_shr:8 row_mask:0xf bank_mask:0xf// 00000002CA44: 7E8002FA FF0118FC
	v_mov_b32_dpp v65, v252 row_shl:8 row_mask:0xf bank_mask:0xf// 00000002CA4C: 7E8202FA FF0108FC
	v_mov_b32_dpp v66, v253 row_shr:8 row_mask:0xf bank_mask:0xf// 00000002CA54: 7E8402FA FF0118FD
	v_mov_b32_dpp v67, v253 row_shl:8 row_mask:0xf bank_mask:0xf// 00000002CA5C: 7E8602FA FF0108FD
	v_mov_b32_e32 v68, v252                                    // 00000002CA64: 7E8803FC
	v_mov_b32_e32 v69, v253                                    // 00000002CA68: 7E8A03FD
	v_cndmask_b32_e64 v252, v68, v64, s[42:43]                 // 00000002CA6C: D10000FC 00AA8144
	v_cndmask_b32_e64 v254, v68, v65, s[78:79]                 // 00000002CA74: D10000FE 013A8344
	v_cndmask_b32_e64 v253, v69, v66, s[42:43]                 // 00000002CA7C: D10000FD 00AA8545
	v_cndmask_b32_e64 v255, v69, v67, s[78:79]                 // 00000002CA84: D10000FF 013A8745
	v_cvt_f32_i32_e32 v160, v160                               // 00000002CA8C: 7F400BA0
	v_cvt_f32_i32_e32 v161, v161                               // 00000002CA90: 7F420BA1
	v_cvt_f32_i32_e32 v162, v162                               // 00000002CA94: 7F440BA2
	v_cvt_f32_i32_e32 v163, v163                               // 00000002CA98: 7F460BA3
	v_cvt_f32_i32_e32 v164, v164                               // 00000002CA9C: 7F480BA4
	v_cvt_f32_i32_e32 v165, v165                               // 00000002CAA0: 7F4A0BA5
	v_cvt_f32_i32_e32 v166, v166                               // 00000002CAA4: 7F4C0BA6
	v_cvt_f32_i32_e32 v167, v167                               // 00000002CAA8: 7F4E0BA7
	v_cvt_f32_i32_e32 v168, v168                               // 00000002CAAC: 7F500BA8
	v_cvt_f32_i32_e32 v169, v169                               // 00000002CAB0: 7F520BA9
	v_cvt_f32_i32_e32 v170, v170                               // 00000002CAB4: 7F540BAA
	v_cvt_f32_i32_e32 v171, v171                               // 00000002CAB8: 7F560BAB
	v_cvt_f32_i32_e32 v172, v172                               // 00000002CABC: 7F580BAC
	v_cvt_f32_i32_e32 v173, v173                               // 00000002CAC0: 7F5A0BAD
	v_cvt_f32_i32_e32 v174, v174                               // 00000002CAC4: 7F5C0BAE
	v_cvt_f32_i32_e32 v175, v175                               // 00000002CAC8: 7F5E0BAF
	v_mul_f32_e32 v160, v21, v160                              // 00000002CACC: 0B414115
	v_mul_f32_e32 v161, v21, v161                              // 00000002CAD0: 0B434315
	v_mul_f32_e32 v162, v21, v162                              // 00000002CAD4: 0B454515
	v_mul_f32_e32 v163, v21, v163                              // 00000002CAD8: 0B474715
	v_mul_f32_e32 v164, v21, v164                              // 00000002CADC: 0B494915
	v_mul_f32_e32 v165, v21, v165                              // 00000002CAE0: 0B4B4B15
	v_mul_f32_e32 v166, v21, v166                              // 00000002CAE4: 0B4D4D15
	v_mul_f32_e32 v167, v21, v167                              // 00000002CAE8: 0B4F4F15
	v_mul_f32_e32 v168, v21, v168                              // 00000002CAEC: 0B515115
	v_mul_f32_e32 v169, v21, v169                              // 00000002CAF0: 0B535315
	v_mul_f32_e32 v170, v21, v170                              // 00000002CAF4: 0B555515
	v_mul_f32_e32 v171, v21, v171                              // 00000002CAF8: 0B575715
	v_mul_f32_e32 v172, v21, v172                              // 00000002CAFC: 0B595915
	v_mul_f32_e32 v173, v21, v173                              // 00000002CB00: 0B5B5B15
	v_mul_f32_e32 v174, v21, v174                              // 00000002CB04: 0B5D5D15
	v_mul_f32_e32 v175, v21, v175                              // 00000002CB08: 0B5F5F15
	v_mul_f32_dpp v160, v248, v160 quad_perm:[0,0,0,0] row_mask:0xf bank_mask:0xf// 00000002CB0C: 0B4140FA FF0000F8
	v_mul_f32_dpp v161, v248, v161 quad_perm:[1,1,1,1] row_mask:0xf bank_mask:0xf// 00000002CB14: 0B4342FA FF0055F8
	v_mul_f32_dpp v162, v248, v162 quad_perm:[2,2,2,2] row_mask:0xf bank_mask:0xf// 00000002CB1C: 0B4544FA FF00AAF8
	v_mul_f32_dpp v163, v248, v163 quad_perm:[3,3,3,3] row_mask:0xf bank_mask:0xf// 00000002CB24: 0B4746FA FF00FFF8
	v_mul_f32_dpp v164, v249, v164 quad_perm:[0,0,0,0] row_mask:0xf bank_mask:0xf// 00000002CB2C: 0B4948FA FF0000F9
	v_mul_f32_dpp v165, v249, v165 quad_perm:[1,1,1,1] row_mask:0xf bank_mask:0xf// 00000002CB34: 0B4B4AFA FF0055F9
	v_mul_f32_dpp v166, v249, v166 quad_perm:[2,2,2,2] row_mask:0xf bank_mask:0xf// 00000002CB3C: 0B4D4CFA FF00AAF9
	v_mul_f32_dpp v167, v249, v167 quad_perm:[3,3,3,3] row_mask:0xf bank_mask:0xf// 00000002CB44: 0B4F4EFA FF00FFF9
	v_mul_f32_dpp v168, v250, v168 quad_perm:[0,0,0,0] row_mask:0xf bank_mask:0xf// 00000002CB4C: 0B5150FA FF0000FA
	v_mul_f32_dpp v169, v250, v169 quad_perm:[1,1,1,1] row_mask:0xf bank_mask:0xf// 00000002CB54: 0B5352FA FF0055FA
	v_mul_f32_dpp v170, v250, v170 quad_perm:[2,2,2,2] row_mask:0xf bank_mask:0xf// 00000002CB5C: 0B5554FA FF00AAFA
	v_mul_f32_dpp v171, v250, v171 quad_perm:[3,3,3,3] row_mask:0xf bank_mask:0xf// 00000002CB64: 0B5756FA FF00FFFA
	v_mul_f32_dpp v172, v251, v172 quad_perm:[0,0,0,0] row_mask:0xf bank_mask:0xf// 00000002CB6C: 0B5958FA FF0000FB
	v_mul_f32_dpp v173, v251, v173 quad_perm:[1,1,1,1] row_mask:0xf bank_mask:0xf// 00000002CB74: 0B5B5AFA FF0055FB
	v_mul_f32_dpp v174, v251, v174 quad_perm:[2,2,2,2] row_mask:0xf bank_mask:0xf// 00000002CB7C: 0B5D5CFA FF00AAFB
	v_mul_f32_dpp v175, v251, v175 quad_perm:[3,3,3,3] row_mask:0xf bank_mask:0xf// 00000002CB84: 0B5F5EFA FF00FFFB
	s_cmp_le_i32 s90, s89                                      // 00000002CB8C: BF05595A
	s_cbranch_scc1 label_AAD6                                  // 00000002CB90: BF850071
	v_mov_b32_e32 v66, 0xff800000                              // 00000002CB94: 7E8402FF FF800000
	s_mov_b32 s60, s90                                         // 00000002CB9C: BEBC005A
	s_add_u32 s61, s89, 0xff                                   // 00000002CBA0: 803DFF59 000000FF
	v_mov_b32_e32 v64, s61                                     // 00000002CBA8: 7E80023D
	v_lshrrev_b32_e32 v240, 4, v0                              // 00000002CBAC: 21E00084
	v_mul_i32_i24_e32 v240, 4, v240                            // 00000002CBB0: 0DE1E084
	v_add_u32_e32 v240, s60, v240                              // 00000002CBB4: 69E1E03C
	s_mov_b32 s61, 3                                           // 00000002CBB8: BEBD0083
	s_mul_i32 s60, 16, s7                                      // 00000002CBBC: 923C0790
	v_sub_u32_e64 v240, v240, s61                              // 00000002CBC0: D13500F0 00007BF0
	v_add_u32_e32 v240, s60, v240                              // 00000002CBC8: 69E1E03C
	v_add_u32_e32 v241, 1, v240                                // 00000002CBCC: 69E3E081
	v_add_u32_e32 v242, 2, v240                                // 00000002CBD0: 69E5E082
	v_add_u32_e32 v243, 3, v240                                // 00000002CBD4: 69E7E083
	v_cmp_le_u32_e64 s[40:41], v240, v64                       // 00000002CBD8: D0CB0028 000281F0
	v_add_u32_e32 v240, 64, v240                               // 00000002CBE0: 69E1E0C0
	s_nop 0                                                    // 00000002CBE4: BF800000
	v_cndmask_b32_e64 v160, v66, v160, s[40:41]                // 00000002CBE8: D10000A0 00A34142
	v_cmp_le_u32_e64 s[40:41], v241, v64                       // 00000002CBF0: D0CB0028 000281F1
	v_add_u32_e32 v241, 64, v241                               // 00000002CBF8: 69E3E2C0
	s_nop 0                                                    // 00000002CBFC: BF800000
	v_cndmask_b32_e64 v161, v66, v161, s[40:41]                // 00000002CC00: D10000A1 00A34342
	v_cmp_le_u32_e64 s[40:41], v242, v64                       // 00000002CC08: D0CB0028 000281F2
	v_add_u32_e32 v242, 64, v242                               // 00000002CC10: 69E5E4C0
	s_nop 0                                                    // 00000002CC14: BF800000
	v_cndmask_b32_e64 v162, v66, v162, s[40:41]                // 00000002CC18: D10000A2 00A34542
	v_cmp_le_u32_e64 s[40:41], v243, v64                       // 00000002CC20: D0CB0028 000281F3
	v_add_u32_e32 v243, 64, v243                               // 00000002CC28: 69E7E6C0
	s_nop 0                                                    // 00000002CC2C: BF800000
	v_cndmask_b32_e64 v163, v66, v163, s[40:41]                // 00000002CC30: D10000A3 00A34742
	v_cmp_le_u32_e64 s[40:41], v240, v64                       // 00000002CC38: D0CB0028 000281F0
	v_add_u32_e32 v240, 64, v240                               // 00000002CC40: 69E1E0C0
	s_nop 0                                                    // 00000002CC44: BF800000
	v_cndmask_b32_e64 v164, v66, v164, s[40:41]                // 00000002CC48: D10000A4 00A34942
	v_cmp_le_u32_e64 s[40:41], v241, v64                       // 00000002CC50: D0CB0028 000281F1
	v_add_u32_e32 v241, 64, v241                               // 00000002CC58: 69E3E2C0
	s_nop 0                                                    // 00000002CC5C: BF800000
	v_cndmask_b32_e64 v165, v66, v165, s[40:41]                // 00000002CC60: D10000A5 00A34B42
	v_cmp_le_u32_e64 s[40:41], v242, v64                       // 00000002CC68: D0CB0028 000281F2
	v_add_u32_e32 v242, 64, v242                               // 00000002CC70: 69E5E4C0
	s_nop 0                                                    // 00000002CC74: BF800000
	v_cndmask_b32_e64 v166, v66, v166, s[40:41]                // 00000002CC78: D10000A6 00A34D42
	v_cmp_le_u32_e64 s[40:41], v243, v64                       // 00000002CC80: D0CB0028 000281F3
	v_add_u32_e32 v243, 64, v243                               // 00000002CC88: 69E7E6C0
	s_nop 0                                                    // 00000002CC8C: BF800000
	v_cndmask_b32_e64 v167, v66, v167, s[40:41]                // 00000002CC90: D10000A7 00A34F42
	v_cmp_le_u32_e64 s[40:41], v240, v64                       // 00000002CC98: D0CB0028 000281F0
	v_add_u32_e32 v240, 64, v240                               // 00000002CCA0: 69E1E0C0
	s_nop 0                                                    // 00000002CCA4: BF800000
	v_cndmask_b32_e64 v168, v66, v168, s[40:41]                // 00000002CCA8: D10000A8 00A35142
	v_cmp_le_u32_e64 s[40:41], v241, v64                       // 00000002CCB0: D0CB0028 000281F1
	v_add_u32_e32 v241, 64, v241                               // 00000002CCB8: 69E3E2C0
	s_nop 0                                                    // 00000002CCBC: BF800000
	v_cndmask_b32_e64 v169, v66, v169, s[40:41]                // 00000002CCC0: D10000A9 00A35342
	v_cmp_le_u32_e64 s[40:41], v242, v64                       // 00000002CCC8: D0CB0028 000281F2
	v_add_u32_e32 v242, 64, v242                               // 00000002CCD0: 69E5E4C0
	s_nop 0                                                    // 00000002CCD4: BF800000
	v_cndmask_b32_e64 v170, v66, v170, s[40:41]                // 00000002CCD8: D10000AA 00A35542
	v_cmp_le_u32_e64 s[40:41], v243, v64                       // 00000002CCE0: D0CB0028 000281F3
	v_add_u32_e32 v243, 64, v243                               // 00000002CCE8: 69E7E6C0
	s_nop 0                                                    // 00000002CCEC: BF800000
	v_cndmask_b32_e64 v171, v66, v171, s[40:41]                // 00000002CCF0: D10000AB 00A35742
	v_cmp_le_u32_e64 s[40:41], v240, v64                       // 00000002CCF8: D0CB0028 000281F0
	v_add_u32_e32 v240, 64, v240                               // 00000002CD00: 69E1E0C0
	s_nop 0                                                    // 00000002CD04: BF800000
	v_cndmask_b32_e64 v172, v66, v172, s[40:41]                // 00000002CD08: D10000AC 00A35942
	v_cmp_le_u32_e64 s[40:41], v241, v64                       // 00000002CD10: D0CB0028 000281F1
	v_add_u32_e32 v241, 64, v241                               // 00000002CD18: 69E3E2C0
	s_nop 0                                                    // 00000002CD1C: BF800000
	v_cndmask_b32_e64 v173, v66, v173, s[40:41]                // 00000002CD20: D10000AD 00A35B42
	v_cmp_le_u32_e64 s[40:41], v242, v64                       // 00000002CD28: D0CB0028 000281F2
	v_add_u32_e32 v242, 64, v242                               // 00000002CD30: 69E5E4C0
	s_nop 0                                                    // 00000002CD34: BF800000
	v_cndmask_b32_e64 v174, v66, v174, s[40:41]                // 00000002CD38: D10000AE 00A35D42
	v_cmp_le_u32_e64 s[40:41], v243, v64                       // 00000002CD40: D0CB0028 000281F3
	v_add_u32_e32 v243, 64, v243                               // 00000002CD48: 69E7E6C0
	s_nop 0                                                    // 00000002CD4C: BF800000
	v_cndmask_b32_e64 v175, v66, v175, s[40:41]                // 00000002CD50: D10000AF 00A35F42

000000000002cd58 <label_AAD6>:
	s_add_u32 s90, s91, s90                                    // 00000002CD58: 805A5A5B
	s_and_b32 s60, s72, 0xff                                   // 00000002CD5C: 863CFF48 000000FF
	v_mov_b32_e32 v65, s60                                     // 00000002CD64: 7E82023C
	v_lshrrev_b32_e32 v240, 4, v0                              // 00000002CD68: 21E00084
	v_mul_i32_i24_e32 v240, 4, v240                            // 00000002CD6C: 0DE1E084
	s_mul_i32 s60, s7, 16                                      // 00000002CD70: 923C9007
	v_add_u32_e32 v240, s60, v240                              // 00000002CD74: 69E1E03C
	v_add_u32_e32 v241, 1, v240                                // 00000002CD78: 69E3E081
	v_add_u32_e32 v242, 2, v240                                // 00000002CD7C: 69E5E082
	v_add_u32_e32 v243, 3, v240                                // 00000002CD80: 69E7E083
	v_mov_b32_e32 v64, 0xff800000                              // 00000002CD84: 7E8002FF FF800000
	v_cmp_lt_u32_e64 s[40:41], v240, v65                       // 00000002CD8C: D0C90028 000283F0
	v_add_u32_e32 v240, 64, v240                               // 00000002CD94: 69E1E0C0
	s_nop 0                                                    // 00000002CD98: BF800000
	v_cndmask_b32_e64 v160, v64, v160, s[40:41]                // 00000002CD9C: D10000A0 00A34140
	v_cmp_lt_u32_e64 s[40:41], v241, v65                       // 00000002CDA4: D0C90028 000283F1
	v_add_u32_e32 v241, 64, v241                               // 00000002CDAC: 69E3E2C0
	s_nop 0                                                    // 00000002CDB0: BF800000
	v_cndmask_b32_e64 v161, v64, v161, s[40:41]                // 00000002CDB4: D10000A1 00A34340
	v_cmp_lt_u32_e64 s[40:41], v242, v65                       // 00000002CDBC: D0C90028 000283F2
	v_add_u32_e32 v242, 64, v242                               // 00000002CDC4: 69E5E4C0
	s_nop 0                                                    // 00000002CDC8: BF800000
	v_cndmask_b32_e64 v162, v64, v162, s[40:41]                // 00000002CDCC: D10000A2 00A34540
	v_cmp_lt_u32_e64 s[40:41], v243, v65                       // 00000002CDD4: D0C90028 000283F3
	v_add_u32_e32 v243, 64, v243                               // 00000002CDDC: 69E7E6C0
	s_nop 0                                                    // 00000002CDE0: BF800000
	v_cndmask_b32_e64 v163, v64, v163, s[40:41]                // 00000002CDE4: D10000A3 00A34740
	v_cmp_lt_u32_e64 s[40:41], v240, v65                       // 00000002CDEC: D0C90028 000283F0
	v_add_u32_e32 v240, 64, v240                               // 00000002CDF4: 69E1E0C0
	s_nop 0                                                    // 00000002CDF8: BF800000
	v_cndmask_b32_e64 v164, v64, v164, s[40:41]                // 00000002CDFC: D10000A4 00A34940
	v_cmp_lt_u32_e64 s[40:41], v241, v65                       // 00000002CE04: D0C90028 000283F1
	v_add_u32_e32 v241, 64, v241                               // 00000002CE0C: 69E3E2C0
	s_nop 0                                                    // 00000002CE10: BF800000
	v_cndmask_b32_e64 v165, v64, v165, s[40:41]                // 00000002CE14: D10000A5 00A34B40
	v_cmp_lt_u32_e64 s[40:41], v242, v65                       // 00000002CE1C: D0C90028 000283F2
	v_add_u32_e32 v242, 64, v242                               // 00000002CE24: 69E5E4C0
	s_nop 0                                                    // 00000002CE28: BF800000
	v_cndmask_b32_e64 v166, v64, v166, s[40:41]                // 00000002CE2C: D10000A6 00A34D40
	v_cmp_lt_u32_e64 s[40:41], v243, v65                       // 00000002CE34: D0C90028 000283F3
	v_add_u32_e32 v243, 64, v243                               // 00000002CE3C: 69E7E6C0
	s_nop 0                                                    // 00000002CE40: BF800000
	v_cndmask_b32_e64 v167, v64, v167, s[40:41]                // 00000002CE44: D10000A7 00A34F40
	v_cmp_lt_u32_e64 s[40:41], v240, v65                       // 00000002CE4C: D0C90028 000283F0
	v_add_u32_e32 v240, 64, v240                               // 00000002CE54: 69E1E0C0
	s_nop 0                                                    // 00000002CE58: BF800000
	v_cndmask_b32_e64 v168, v64, v168, s[40:41]                // 00000002CE5C: D10000A8 00A35140
	v_cmp_lt_u32_e64 s[40:41], v241, v65                       // 00000002CE64: D0C90028 000283F1
	v_add_u32_e32 v241, 64, v241                               // 00000002CE6C: 69E3E2C0
	s_nop 0                                                    // 00000002CE70: BF800000
	v_cndmask_b32_e64 v169, v64, v169, s[40:41]                // 00000002CE74: D10000A9 00A35340
	v_cmp_lt_u32_e64 s[40:41], v242, v65                       // 00000002CE7C: D0C90028 000283F2
	v_add_u32_e32 v242, 64, v242                               // 00000002CE84: 69E5E4C0
	s_nop 0                                                    // 00000002CE88: BF800000
	v_cndmask_b32_e64 v170, v64, v170, s[40:41]                // 00000002CE8C: D10000AA 00A35540
	v_cmp_lt_u32_e64 s[40:41], v243, v65                       // 00000002CE94: D0C90028 000283F3
	v_add_u32_e32 v243, 64, v243                               // 00000002CE9C: 69E7E6C0
	s_nop 0                                                    // 00000002CEA0: BF800000
	v_cndmask_b32_e64 v171, v64, v171, s[40:41]                // 00000002CEA4: D10000AB 00A35740
	v_cmp_lt_u32_e64 s[40:41], v240, v65                       // 00000002CEAC: D0C90028 000283F0
	v_add_u32_e32 v240, 64, v240                               // 00000002CEB4: 69E1E0C0
	s_nop 0                                                    // 00000002CEB8: BF800000
	v_cndmask_b32_e64 v172, v64, v172, s[40:41]                // 00000002CEBC: D10000AC 00A35940
	v_cmp_lt_u32_e64 s[40:41], v241, v65                       // 00000002CEC4: D0C90028 000283F1
	v_add_u32_e32 v241, 64, v241                               // 00000002CECC: 69E3E2C0
	s_nop 0                                                    // 00000002CED0: BF800000
	v_cndmask_b32_e64 v173, v64, v173, s[40:41]                // 00000002CED4: D10000AD 00A35B40
	v_cmp_lt_u32_e64 s[40:41], v242, v65                       // 00000002CEDC: D0C90028 000283F2
	v_add_u32_e32 v242, 64, v242                               // 00000002CEE4: 69E5E4C0
	s_nop 0                                                    // 00000002CEE8: BF800000
	v_cndmask_b32_e64 v174, v64, v174, s[40:41]                // 00000002CEEC: D10000AE 00A35D40
	v_cmp_lt_u32_e64 s[40:41], v243, v65                       // 00000002CEF4: D0C90028 000283F3
	v_add_u32_e32 v243, 64, v243                               // 00000002CEFC: 69E7E6C0
	s_nop 0                                                    // 00000002CF00: BF800000
	v_cndmask_b32_e64 v175, v64, v175, s[40:41]                // 00000002CF04: D10000AF 00A35F40
	v_mov_b32_e32 v48, v160                                    // 00000002CF0C: 7E6003A0
	v_max3_f32 v48, v160, v161, v48                            // 00000002CF10: D1D30030 04C343A0
	v_max3_f32 v48, v162, v163, v48                            // 00000002CF18: D1D30030 04C347A2
	v_max3_f32 v48, v164, v165, v48                            // 00000002CF20: D1D30030 04C34BA4
	v_max3_f32 v48, v166, v167, v48                            // 00000002CF28: D1D30030 04C34FA6
	v_max3_f32 v48, v168, v169, v48                            // 00000002CF30: D1D30030 04C353A8
	v_max3_f32 v48, v170, v171, v48                            // 00000002CF38: D1D30030 04C357AA
	v_max3_f32 v48, v172, v173, v48                            // 00000002CF40: D1D30030 04C35BAC
	v_max3_f32 v48, v174, v175, v48                            // 00000002CF48: D1D30030 04C35FAE
	ds_write_b32 v8, v48 offset:16896                          // 00000002CF50: D81A4200 00003008
	v_mul_f32_e32 v232, v52, v232                              // 00000002CF58: 0BD1D134
	v_mul_f32_e32 v233, v52, v233                              // 00000002CF5C: 0BD3D334
	v_mul_f32_e32 v234, v52, v234                              // 00000002CF60: 0BD5D534
	v_mul_f32_e32 v235, v52, v235                              // 00000002CF64: 0BD7D734
	v_mul_f32_e32 v236, v52, v236                              // 00000002CF68: 0BD9D934
	v_mul_f32_e32 v237, v52, v237                              // 00000002CF6C: 0BDBDB34
	v_mul_f32_e32 v238, v52, v238                              // 00000002CF70: 0BDDDD34
	v_mul_f32_e32 v239, v52, v239                              // 00000002CF74: 0BDFDF34
	s_waitcnt lgkmcnt(0)                                       // 00000002CF78: BF8CC07F
	s_barrier                                                  // 00000002CF7C: BF8A0000
	ds_read_b32 v64, v7 offset:16896                           // 00000002CF80: D86C4200 40000007
	ds_read_b32 v65, v7 offset:16960                           // 00000002CF88: D86C4240 41000007
	ds_read_b32 v66, v7 offset:17024                           // 00000002CF90: D86C4280 42000007
	ds_read_b32 v67, v7 offset:17088                           // 00000002CF98: D86C42C0 43000007
	ds_read_b32 v68, v7 offset:17152                           // 00000002CFA0: D86C4300 44000007
	ds_read_b32 v69, v7 offset:17216                           // 00000002CFA8: D86C4340 45000007
	ds_read_b32 v70, v7 offset:17280                           // 00000002CFB0: D86C4380 46000007
	ds_read_b32 v71, v7 offset:17344                           // 00000002CFB8: D86C43C0 47000007
	ds_read_b32 v72, v7 offset:17408                           // 00000002CFC0: D86C4400 48000007
	ds_read_b32 v73, v7 offset:17472                           // 00000002CFC8: D86C4440 49000007
	ds_read_b32 v74, v7 offset:17536                           // 00000002CFD0: D86C4480 4A000007
	ds_read_b32 v75, v7 offset:17600                           // 00000002CFD8: D86C44C0 4B000007
	ds_read_b32 v76, v7 offset:17664                           // 00000002CFE0: D86C4500 4C000007
	ds_read_b32 v77, v7 offset:17728                           // 00000002CFE8: D86C4540 4D000007
	ds_read_b32 v78, v7 offset:17792                           // 00000002CFF0: D86C4580 4E000007
	ds_read_b32 v79, v7 offset:17856                           // 00000002CFF8: D86C45C0 4F000007
	v_cvt_f32_i32_e32 v200, v200                               // 00000002D000: 7F900BC8
	v_cvt_f32_i32_e32 v201, v201                               // 00000002D004: 7F920BC9
	v_cvt_f32_i32_e32 v202, v202                               // 00000002D008: 7F940BCA
	v_cvt_f32_i32_e32 v203, v203                               // 00000002D00C: 7F960BCB
	v_cvt_f32_i32_e32 v204, v204                               // 00000002D010: 7F980BCC
	v_cvt_f32_i32_e32 v205, v205                               // 00000002D014: 7F9A0BCD
	v_cvt_f32_i32_e32 v206, v206                               // 00000002D018: 7F9C0BCE
	v_cvt_f32_i32_e32 v207, v207                               // 00000002D01C: 7F9E0BCF
	v_mul_f32_e32 v200, v47, v200                              // 00000002D020: 0B91912F
	v_mul_f32_e32 v201, v47, v201                              // 00000002D024: 0B93932F
	v_mul_f32_e32 v202, v47, v202                              // 00000002D028: 0B95952F
	v_mul_f32_e32 v203, v47, v203                              // 00000002D02C: 0B97972F
	v_mul_f32_e32 v204, v47, v204                              // 00000002D030: 0B99992F
	v_mul_f32_e32 v205, v47, v205                              // 00000002D034: 0B9B9B2F
	v_mul_f32_e32 v206, v47, v206                              // 00000002D038: 0B9D9D2F
	v_mul_f32_e32 v207, v47, v207                              // 00000002D03C: 0B9F9F2F
	s_waitcnt lgkmcnt(0)                                       // 00000002D040: BF8CC07F
	v_max3_f32 v48, v64, v65, v48                              // 00000002D044: D1D30030 04C28340
	v_max3_f32 v48, v66, v67, v48                              // 00000002D04C: D1D30030 04C28742
	v_max3_f32 v48, v68, v69, v48                              // 00000002D054: D1D30030 04C28B44
	v_max3_f32 v48, v70, v71, v48                              // 00000002D05C: D1D30030 04C28F46
	v_max3_f32 v48, v72, v73, v48                              // 00000002D064: D1D30030 04C29348
	v_max3_f32 v48, v74, v75, v48                              // 00000002D06C: D1D30030 04C2974A
	v_max3_f32 v48, v76, v77, v48                              // 00000002D074: D1D30030 04C29B4C
	v_max3_f32 v48, v78, v79, v48                              // 00000002D07C: D1D30030 04C29F4E
	v_mov_b32_e32 v64, 0xff800000                              // 00000002D084: 7E8002FF FF800000
	v_cmp_eq_u32_e64 s[40:41], v64, v14                        // 00000002D08C: D0CA0028 00021D40
	s_nop 1                                                    // 00000002D094: BF800001
	v_max_f32_e32 v15, v48, v14                                // 00000002D098: 161E1D30
	v_mul_f32_e32 v53, s64, v15                                // 00000002D09C: 0A6A1E40
	v_fma_f32 v160, v160, s64, -v53                            // 00000002D0A0: D1CB00A0 84D481A0
	v_fma_f32 v161, v161, s64, -v53                            // 00000002D0A8: D1CB00A1 84D481A1
	v_fma_f32 v162, v162, s64, -v53                            // 00000002D0B0: D1CB00A2 84D481A2
	v_fma_f32 v163, v163, s64, -v53                            // 00000002D0B8: D1CB00A3 84D481A3
	v_fma_f32 v164, v164, s64, -v53                            // 00000002D0C0: D1CB00A4 84D481A4
	v_fma_f32 v165, v165, s64, -v53                            // 00000002D0C8: D1CB00A5 84D481A5
	v_fma_f32 v166, v166, s64, -v53                            // 00000002D0D0: D1CB00A6 84D481A6
	v_fma_f32 v167, v167, s64, -v53                            // 00000002D0D8: D1CB00A7 84D481A7
	v_fma_f32 v168, v168, s64, -v53                            // 00000002D0E0: D1CB00A8 84D481A8
	v_fma_f32 v169, v169, s64, -v53                            // 00000002D0E8: D1CB00A9 84D481A9
	v_fma_f32 v170, v170, s64, -v53                            // 00000002D0F0: D1CB00AA 84D481AA
	v_fma_f32 v171, v171, s64, -v53                            // 00000002D0F8: D1CB00AB 84D481AB
	v_fma_f32 v172, v172, s64, -v53                            // 00000002D100: D1CB00AC 84D481AC
	v_fma_f32 v173, v173, s64, -v53                            // 00000002D108: D1CB00AD 84D481AD
	v_fma_f32 v174, v174, s64, -v53                            // 00000002D110: D1CB00AE 84D481AE
	v_fma_f32 v175, v175, s64, -v53                            // 00000002D118: D1CB00AF 84D481AF
	v_exp_f32_e32 v160, v160                                   // 00000002D120: 7F4041A0
	v_exp_f32_e32 v161, v161                                   // 00000002D124: 7F4241A1
	v_exp_f32_e32 v162, v162                                   // 00000002D128: 7F4441A2
	v_exp_f32_e32 v163, v163                                   // 00000002D12C: 7F4641A3
	v_exp_f32_e32 v164, v164                                   // 00000002D130: 7F4841A4
	v_exp_f32_e32 v165, v165                                   // 00000002D134: 7F4A41A5
	v_exp_f32_e32 v166, v166                                   // 00000002D138: 7F4C41A6
	v_exp_f32_e32 v167, v167                                   // 00000002D13C: 7F4E41A7
	v_exp_f32_e32 v168, v168                                   // 00000002D140: 7F5041A8
	v_exp_f32_e32 v169, v169                                   // 00000002D144: 7F5241A9
	v_exp_f32_e32 v170, v170                                   // 00000002D148: 7F5441AA
	v_exp_f32_e32 v171, v171                                   // 00000002D14C: 7F5641AB
	v_exp_f32_e32 v172, v172                                   // 00000002D150: 7F5841AC
	v_exp_f32_e32 v173, v173                                   // 00000002D154: 7F5A41AD
	v_exp_f32_e32 v174, v174                                   // 00000002D158: 7F5C41AE
	v_exp_f32_e32 v175, v175                                   // 00000002D15C: 7F5E41AF
	v_mul_f32_dpp v240, v252, v160 quad_perm:[0,0,0,0] row_mask:0xf bank_mask:0xf// 00000002D160: 0BE140FA FF0000FC
	v_mul_f32_dpp v241, v252, v161 quad_perm:[1,1,1,1] row_mask:0xf bank_mask:0xf// 00000002D168: 0BE342FA FF0055FC
	v_mul_f32_dpp v242, v252, v162 quad_perm:[2,2,2,2] row_mask:0xf bank_mask:0xf// 00000002D170: 0BE544FA FF00AAFC
	v_mul_f32_dpp v243, v252, v163 quad_perm:[3,3,3,3] row_mask:0xf bank_mask:0xf// 00000002D178: 0BE746FA FF00FFFC
	v_mul_f32_dpp v244, v253, v164 quad_perm:[0,0,0,0] row_mask:0xf bank_mask:0xf// 00000002D180: 0BE948FA FF0000FD
	v_mul_f32_dpp v245, v253, v165 quad_perm:[1,1,1,1] row_mask:0xf bank_mask:0xf// 00000002D188: 0BEB4AFA FF0055FD
	v_mul_f32_dpp v246, v253, v166 quad_perm:[2,2,2,2] row_mask:0xf bank_mask:0xf// 00000002D190: 0BED4CFA FF00AAFD
	v_mul_f32_dpp v247, v253, v167 quad_perm:[3,3,3,3] row_mask:0xf bank_mask:0xf// 00000002D198: 0BEF4EFA FF00FFFD
	v_mul_f32_dpp v248, v254, v168 quad_perm:[0,0,0,0] row_mask:0xf bank_mask:0xf// 00000002D1A0: 0BF150FA FF0000FE
	v_mul_f32_dpp v249, v254, v169 quad_perm:[1,1,1,1] row_mask:0xf bank_mask:0xf// 00000002D1A8: 0BF352FA FF0055FE
	v_mul_f32_dpp v250, v254, v170 quad_perm:[2,2,2,2] row_mask:0xf bank_mask:0xf// 00000002D1B0: 0BF554FA FF00AAFE
	v_mul_f32_dpp v251, v254, v171 quad_perm:[3,3,3,3] row_mask:0xf bank_mask:0xf// 00000002D1B8: 0BF756FA FF00FFFE
	v_mul_f32_dpp v252, v255, v172 quad_perm:[0,0,0,0] row_mask:0xf bank_mask:0xf// 00000002D1C0: 0BF958FA FF0000FF
	v_mul_f32_dpp v253, v255, v173 quad_perm:[1,1,1,1] row_mask:0xf bank_mask:0xf// 00000002D1C8: 0BFB5AFA FF0055FF
	v_mul_f32_dpp v254, v255, v174 quad_perm:[2,2,2,2] row_mask:0xf bank_mask:0xf// 00000002D1D0: 0BFD5CFA FF00AAFF
	v_mul_f32_dpp v255, v255, v175 quad_perm:[3,3,3,3] row_mask:0xf bank_mask:0xf// 00000002D1D8: 0BFF5EFA FF00FFFF
	v_mov_b32_e32 v48, 0x358637bd                              // 00000002D1E0: 7E6002FF 358637BD
	v_max3_f32 v48, |v240|, |v241|, v48                        // 00000002D1E8: D1D30330 04C3E3F0
	v_max3_f32 v48, |v242|, |v243|, v48                        // 00000002D1F0: D1D30330 04C3E7F2
	v_max3_f32 v48, |v244|, |v245|, v48                        // 00000002D1F8: D1D30330 04C3EBF4
	v_max3_f32 v48, |v246|, |v247|, v48                        // 00000002D200: D1D30330 04C3EFF6
	v_max3_f32 v48, |v248|, |v249|, v48                        // 00000002D208: D1D30330 04C3F3F8
	v_max3_f32 v48, |v250|, |v251|, v48                        // 00000002D210: D1D30330 04C3F7FA
	v_max3_f32 v48, |v252|, |v253|, v48                        // 00000002D218: D1D30330 04C3FBFC
	v_max3_f32 v48, |v254|, |v255|, v48                        // 00000002D220: D1D30330 04C3FFFE
	ds_write_b32 v8, v48 offset:20992                          // 00000002D228: D81A5200 00003008
	v_sub_f32_e32 v52, v14, v15                                // 00000002D230: 04681F0E
	v_cndmask_b32_e64 v52, v52, 0, s[40:41]                    // 00000002D234: D1000034 00A10134
	v_mov_b32_e32 v14, v15                                     // 00000002D23C: 7E1C030F
	v_mul_f32_e32 v52, s64, v52                                // 00000002D240: 0A686840
	v_exp_f32_e32 v52, v52                                     // 00000002D244: 7E684134
	s_waitcnt lgkmcnt(0)                                       // 00000002D248: BF8CC07F
	s_barrier                                                  // 00000002D24C: BF8A0000
	ds_read_b32 v64, v7 offset:20992                           // 00000002D250: D86C5200 40000007
	ds_read_b32 v65, v7 offset:21056                           // 00000002D258: D86C5240 41000007
	ds_read_b32 v66, v7 offset:21120                           // 00000002D260: D86C5280 42000007
	ds_read_b32 v67, v7 offset:21184                           // 00000002D268: D86C52C0 43000007
	ds_read_b32 v68, v7 offset:21248                           // 00000002D270: D86C5300 44000007
	ds_read_b32 v69, v7 offset:21312                           // 00000002D278: D86C5340 45000007
	ds_read_b32 v70, v7 offset:21376                           // 00000002D280: D86C5380 46000007
	ds_read_b32 v71, v7 offset:21440                           // 00000002D288: D86C53C0 47000007
	ds_read_b32 v72, v7 offset:21504                           // 00000002D290: D86C5400 48000007
	ds_read_b32 v73, v7 offset:21568                           // 00000002D298: D86C5440 49000007
	ds_read_b32 v74, v7 offset:21632                           // 00000002D2A0: D86C5480 4A000007
	ds_read_b32 v75, v7 offset:21696                           // 00000002D2A8: D86C54C0 4B000007
	ds_read_b32 v76, v7 offset:21760                           // 00000002D2B0: D86C5500 4C000007
	ds_read_b32 v77, v7 offset:21824                           // 00000002D2B8: D86C5540 4D000007
	ds_read_b32 v78, v7 offset:21888                           // 00000002D2C0: D86C5580 4E000007
	ds_read_b32 v79, v7 offset:21952                           // 00000002D2C8: D86C55C0 4F000007
	v_mul_f32_e32 v41, v52, v41                                // 00000002D2D0: 0A525334
	v_mov_b32_e32 v15, v160                                    // 00000002D2D4: 7E1E03A0
	v_add_f32_e32 v15, v161, v15                               // 00000002D2D8: 021E1FA1
	v_add_f32_e32 v15, v162, v15                               // 00000002D2DC: 021E1FA2
	v_add_f32_e32 v15, v163, v15                               // 00000002D2E0: 021E1FA3
	v_add_f32_e32 v15, v164, v15                               // 00000002D2E4: 021E1FA4
	v_add_f32_e32 v15, v165, v15                               // 00000002D2E8: 021E1FA5
	v_add_f32_e32 v15, v166, v15                               // 00000002D2EC: 021E1FA6
	v_add_f32_e32 v15, v167, v15                               // 00000002D2F0: 021E1FA7
	v_add_f32_e32 v15, v168, v15                               // 00000002D2F4: 021E1FA8
	v_add_f32_e32 v15, v169, v15                               // 00000002D2F8: 021E1FA9
	v_add_f32_e32 v15, v170, v15                               // 00000002D2FC: 021E1FAA
	v_add_f32_e32 v15, v171, v15                               // 00000002D300: 021E1FAB
	v_add_f32_e32 v15, v172, v15                               // 00000002D304: 021E1FAC
	v_add_f32_e32 v15, v173, v15                               // 00000002D308: 021E1FAD
	v_add_f32_e32 v15, v174, v15                               // 00000002D30C: 021E1FAE
	v_add_f32_e32 v15, v175, v15                               // 00000002D310: 021E1FAF
	v_add_f32_e32 v41, v15, v41                                // 00000002D314: 0252530F
	s_waitcnt lgkmcnt(0)                                       // 00000002D318: BF8CC07F
	v_max3_f32 v48, |v64|, |v65|, v48                          // 00000002D31C: D1D30330 04C28340
	v_max3_f32 v48, |v66|, |v67|, v48                          // 00000002D324: D1D30330 04C28742
	v_max3_f32 v48, |v68|, |v69|, v48                          // 00000002D32C: D1D30330 04C28B44
	v_max3_f32 v48, |v70|, |v71|, v48                          // 00000002D334: D1D30330 04C28F46
	v_max3_f32 v48, |v72|, |v73|, v48                          // 00000002D33C: D1D30330 04C29348
	v_max3_f32 v48, |v74|, |v75|, v48                          // 00000002D344: D1D30330 04C2974A
	v_max3_f32 v48, |v76|, |v77|, v48                          // 00000002D34C: D1D30330 04C29B4C
	v_max3_f32 v48, |v78|, |v79|, v48                          // 00000002D354: D1D30330 04C29F4E
	s_nop 2                                                    // 00000002D35C: BF800002
	v_rcp_f32_e32 v48, v48                                     // 00000002D360: 7E604530
	s_nop 1                                                    // 00000002D364: BF800001
	v_mul_f32_e32 v48, 0x42fe0000, v48                         // 00000002D368: 0A6060FF 42FE0000
	v_mul_f32_e32 v160, v48, v240                              // 00000002D370: 0B41E130
	v_mul_f32_e32 v161, v48, v241                              // 00000002D374: 0B43E330
	v_mul_f32_e32 v162, v48, v242                              // 00000002D378: 0B45E530
	v_mul_f32_e32 v163, v48, v243                              // 00000002D37C: 0B47E730
	v_mul_f32_e32 v164, v48, v244                              // 00000002D380: 0B49E930
	v_mul_f32_e32 v165, v48, v245                              // 00000002D384: 0B4BEB30
	v_mul_f32_e32 v166, v48, v246                              // 00000002D388: 0B4DED30
	v_mul_f32_e32 v167, v48, v247                              // 00000002D38C: 0B4FEF30
	v_mul_f32_e32 v168, v48, v248                              // 00000002D390: 0B51F130
	v_mul_f32_e32 v169, v48, v249                              // 00000002D394: 0B53F330
	v_mul_f32_e32 v170, v48, v250                              // 00000002D398: 0B55F530
	v_mul_f32_e32 v171, v48, v251                              // 00000002D39C: 0B57F730
	v_mul_f32_e32 v172, v48, v252                              // 00000002D3A0: 0B59F930
	v_mul_f32_e32 v173, v48, v253                              // 00000002D3A4: 0B5BFB30
	v_mul_f32_e32 v174, v48, v254                              // 00000002D3A8: 0B5DFD30
	v_mul_f32_e32 v175, v48, v255                              // 00000002D3AC: 0B5FFF30
	v_cvt_i32_f32_e32 v160, v160                               // 00000002D3B0: 7F4011A0
	v_cvt_i32_f32_e32 v161, v161                               // 00000002D3B4: 7F4211A1
	v_cvt_i32_f32_e32 v162, v162                               // 00000002D3B8: 7F4411A2
	v_cvt_i32_f32_e32 v163, v163                               // 00000002D3BC: 7F4611A3
	v_cvt_i32_f32_e32 v164, v164                               // 00000002D3C0: 7F4811A4
	v_cvt_i32_f32_e32 v165, v165                               // 00000002D3C4: 7F4A11A5
	v_cvt_i32_f32_e32 v166, v166                               // 00000002D3C8: 7F4C11A6
	v_cvt_i32_f32_e32 v167, v167                               // 00000002D3CC: 7F4E11A7
	v_cvt_i32_f32_e32 v168, v168                               // 00000002D3D0: 7F5011A8
	v_cvt_i32_f32_e32 v169, v169                               // 00000002D3D4: 7F5211A9
	v_cvt_i32_f32_e32 v170, v170                               // 00000002D3D8: 7F5411AA
	v_cvt_i32_f32_e32 v171, v171                               // 00000002D3DC: 7F5611AB
	v_cvt_i32_f32_e32 v172, v172                               // 00000002D3E0: 7F5811AC
	v_cvt_i32_f32_e32 v173, v173                               // 00000002D3E4: 7F5A11AD
	v_cvt_i32_f32_e32 v174, v174                               // 00000002D3E8: 7F5C11AE
	v_cvt_i32_f32_e32 v175, v175                               // 00000002D3EC: 7F5E11AF
	v_perm_b32 v160, v161, v160, s53                           // 00000002D3F0: D1ED00A0 00D741A1
	v_perm_b32 v160, v162, v160, s54                           // 00000002D3F8: D1ED00A0 00DB41A2
	v_perm_b32 v160, v163, v160, s55                           // 00000002D400: D1ED00A0 00DF41A3
	v_perm_b32 v161, v165, v164, s53                           // 00000002D408: D1ED00A1 00D749A5
	v_perm_b32 v161, v166, v161, s54                           // 00000002D410: D1ED00A1 00DB43A6
	v_perm_b32 v161, v167, v161, s55                           // 00000002D418: D1ED00A1 00DF43A7
	v_perm_b32 v162, v169, v168, s53                           // 00000002D420: D1ED00A2 00D751A9
	v_perm_b32 v162, v170, v162, s54                           // 00000002D428: D1ED00A2 00DB45AA
	v_perm_b32 v162, v171, v162, s55                           // 00000002D430: D1ED00A2 00DF45AB
	v_perm_b32 v163, v173, v172, s53                           // 00000002D438: D1ED00A3 00D759AD
	v_perm_b32 v163, v174, v163, s54                           // 00000002D440: D1ED00A3 00DB47AE
	v_perm_b32 v163, v175, v163, s55                           // 00000002D448: D1ED00A3 00DF47AF
	ds_write_b32 v10, v160 offset:37376                        // 00000002D450: D81A9200 0000A00A
	ds_write_b32 v10, v161 offset:38400                        // 00000002D458: D81A9600 0000A10A
	ds_write_b32 v10, v162 offset:39424                        // 00000002D460: D81A9A00 0000A20A
	ds_write_b32 v10, v163 offset:40448                        // 00000002D468: D81A9E00 0000A30A
	v_add_f32_e32 v232, v232, v200                             // 00000002D470: 03D191E8
	v_add_f32_e32 v233, v233, v201                             // 00000002D474: 03D393E9
	v_add_f32_e32 v234, v234, v202                             // 00000002D478: 03D595EA
	v_add_f32_e32 v235, v235, v203                             // 00000002D47C: 03D797EB
	v_add_f32_e32 v236, v236, v204                             // 00000002D480: 03D999EC
	v_add_f32_e32 v237, v237, v205                             // 00000002D484: 03DB9BED
	v_add_f32_e32 v238, v238, v206                             // 00000002D488: 03DD9DEE
	v_add_f32_e32 v239, v239, v207                             // 00000002D48C: 03DF9FEF
	v_rcp_f32_e32 v47, v48                                     // 00000002D490: 7E5E4530
	s_waitcnt lgkmcnt(0)                                       // 00000002D494: BF8CC07F
	s_barrier                                                  // 00000002D498: BF8A0000
	ds_read_b64 v[160:161], v9 offset:37376                    // 00000002D49C: D8EC9200 A0000009
	ds_read_b64 v[162:163], v9 offset:37504                    // 00000002D4A4: D8EC9280 A2000009
	ds_read_b64 v[164:165], v9 offset:38400                    // 00000002D4AC: D8EC9600 A4000009
	ds_read_b64 v[166:167], v9 offset:38528                    // 00000002D4B4: D8EC9680 A6000009
	ds_read_b64 v[168:169], v9 offset:39424                    // 00000002D4BC: D8EC9A00 A8000009
	ds_read_b64 v[170:171], v9 offset:39552                    // 00000002D4C4: D8EC9A80 AA000009
	ds_read_b64 v[172:173], v9 offset:40448                    // 00000002D4CC: D8EC9E00 AC000009
	ds_read_b64 v[174:175], v9 offset:40576                    // 00000002D4D4: D8EC9E80 AE000009
	s_waitcnt vmcnt(0)                                         // 00000002D4DC: BF8C0F70
	s_barrier                                                  // 00000002D4E0: BF8A0000
	v_mfma_i32_16x16x32_i8 v[176:179], a[64:65], v[112:113], 0 // 00000002D4E4: D3D700B0 0A02E140
	v_mfma_i32_16x16x32_i8 v[176:179], a[66:67], v[114:115], v[176:179]// 00000002D4EC: D3D700B0 0EC2E542
	v_mfma_i32_16x16x32_i8 v[176:179], a[68:69], v[116:117], v[176:179]// 00000002D4F4: D3D700B0 0EC2E944
	v_mfma_i32_16x16x32_i8 v[176:179], a[70:71], v[118:119], v[176:179]// 00000002D4FC: D3D700B0 0EC2ED46
	v_mfma_i32_16x16x32_i8 v[176:179], a[72:73], v[120:121], v[176:179]// 00000002D504: D3D700B0 0EC2F148
	v_mfma_i32_16x16x32_i8 v[176:179], a[74:75], v[122:123], v[176:179]// 00000002D50C: D3D700B0 0EC2F54A
	v_mfma_i32_16x16x32_i8 v[176:179], a[76:77], v[124:125], v[176:179]// 00000002D514: D3D700B0 0EC2F94C
	v_mfma_i32_16x16x32_i8 v[176:179], a[78:79], v[126:127], v[176:179]// 00000002D51C: D3D700B0 0EC2FD4E
	v_mfma_i32_16x16x32_i8 v[180:183], a[80:81], v[112:113], 0 // 00000002D524: D3D700B4 0A02E150
	v_mfma_i32_16x16x32_i8 v[180:183], a[82:83], v[114:115], v[180:183]// 00000002D52C: D3D700B4 0ED2E552
	v_mfma_i32_16x16x32_i8 v[180:183], a[84:85], v[116:117], v[180:183]// 00000002D534: D3D700B4 0ED2E954
	v_mfma_i32_16x16x32_i8 v[180:183], a[86:87], v[118:119], v[180:183]// 00000002D53C: D3D700B4 0ED2ED56
	v_mfma_i32_16x16x32_i8 v[180:183], a[88:89], v[120:121], v[180:183]// 00000002D544: D3D700B4 0ED2F158
	v_mfma_i32_16x16x32_i8 v[180:183], a[90:91], v[122:123], v[180:183]// 00000002D54C: D3D700B4 0ED2F55A
	v_mfma_i32_16x16x32_i8 v[180:183], a[92:93], v[124:125], v[180:183]// 00000002D554: D3D700B4 0ED2F95C
	v_mfma_i32_16x16x32_i8 v[180:183], a[94:95], v[126:127], v[180:183]// 00000002D55C: D3D700B4 0ED2FD5E
	v_mfma_i32_16x16x32_i8 v[184:187], a[64:65], v[128:129], 0 // 00000002D564: D3D700B8 0A030140
	v_mfma_i32_16x16x32_i8 v[184:187], a[66:67], v[130:131], v[184:187]// 00000002D56C: D3D700B8 0EE30542
	v_mfma_i32_16x16x32_i8 v[184:187], a[68:69], v[132:133], v[184:187]// 00000002D574: D3D700B8 0EE30944
	v_mfma_i32_16x16x32_i8 v[184:187], a[70:71], v[134:135], v[184:187]// 00000002D57C: D3D700B8 0EE30D46
	v_mfma_i32_16x16x32_i8 v[184:187], a[72:73], v[136:137], v[184:187]// 00000002D584: D3D700B8 0EE31148
	v_mfma_i32_16x16x32_i8 v[184:187], a[74:75], v[138:139], v[184:187]// 00000002D58C: D3D700B8 0EE3154A
	v_mfma_i32_16x16x32_i8 v[184:187], a[76:77], v[140:141], v[184:187]// 00000002D594: D3D700B8 0EE3194C
	v_mfma_i32_16x16x32_i8 v[184:187], a[78:79], v[142:143], v[184:187]// 00000002D59C: D3D700B8 0EE31D4E
	v_mfma_i32_16x16x32_i8 v[188:191], a[80:81], v[128:129], 0 // 00000002D5A4: D3D700BC 0A030150
	v_mfma_i32_16x16x32_i8 v[188:191], a[82:83], v[130:131], v[188:191]// 00000002D5AC: D3D700BC 0EF30552
	v_mfma_i32_16x16x32_i8 v[188:191], a[84:85], v[132:133], v[188:191]// 00000002D5B4: D3D700BC 0EF30954
	v_mfma_i32_16x16x32_i8 v[188:191], a[86:87], v[134:135], v[188:191]// 00000002D5BC: D3D700BC 0EF30D56
	v_mfma_i32_16x16x32_i8 v[188:191], a[88:89], v[136:137], v[188:191]// 00000002D5C4: D3D700BC 0EF31158
	v_mfma_i32_16x16x32_i8 v[188:191], a[90:91], v[138:139], v[188:191]// 00000002D5CC: D3D700BC 0EF3155A
	v_mfma_i32_16x16x32_i8 v[188:191], a[92:93], v[140:141], v[188:191]// 00000002D5D4: D3D700BC 0EF3195C
	v_mfma_i32_16x16x32_i8 v[188:191], a[94:95], v[142:143], v[188:191]// 00000002D5DC: D3D700BC 0EF31D5E
	v_mfma_i32_16x16x32_i8 v[192:195], a[64:65], v[144:145], 0 // 00000002D5E4: D3D700C0 0A032140
	v_mfma_i32_16x16x32_i8 v[192:195], a[66:67], v[146:147], v[192:195]// 00000002D5EC: D3D700C0 0F032542
	v_mfma_i32_16x16x32_i8 v[192:195], a[68:69], v[148:149], v[192:195]// 00000002D5F4: D3D700C0 0F032944
	v_mfma_i32_16x16x32_i8 v[192:195], a[70:71], v[150:151], v[192:195]// 00000002D5FC: D3D700C0 0F032D46
	v_mfma_i32_16x16x32_i8 v[192:195], a[72:73], v[152:153], v[192:195]// 00000002D604: D3D700C0 0F033148
	v_mfma_i32_16x16x32_i8 v[192:195], a[74:75], v[154:155], v[192:195]// 00000002D60C: D3D700C0 0F03354A
	v_mfma_i32_16x16x32_i8 v[192:195], a[76:77], v[156:157], v[192:195]// 00000002D614: D3D700C0 0F03394C
	v_mfma_i32_16x16x32_i8 v[192:195], a[78:79], v[158:159], v[192:195]// 00000002D61C: D3D700C0 0F033D4E
	v_mfma_i32_16x16x32_i8 v[196:199], a[80:81], v[144:145], 0 // 00000002D624: D3D700C4 0A032150
	v_mfma_i32_16x16x32_i8 v[196:199], a[82:83], v[146:147], v[196:199]// 00000002D62C: D3D700C4 0F132552
	v_mfma_i32_16x16x32_i8 v[196:199], a[84:85], v[148:149], v[196:199]// 00000002D634: D3D700C4 0F132954
	v_mfma_i32_16x16x32_i8 v[196:199], a[86:87], v[150:151], v[196:199]// 00000002D63C: D3D700C4 0F132D56
	v_mfma_i32_16x16x32_i8 v[196:199], a[88:89], v[152:153], v[196:199]// 00000002D644: D3D700C4 0F133158
	v_mfma_i32_16x16x32_i8 v[196:199], a[90:91], v[154:155], v[196:199]// 00000002D64C: D3D700C4 0F13355A
	v_mfma_i32_16x16x32_i8 v[196:199], a[92:93], v[156:157], v[196:199]// 00000002D654: D3D700C4 0F13395C
	v_mfma_i32_16x16x32_i8 v[196:199], a[94:95], v[158:159], v[196:199]// 00000002D65C: D3D700C4 0F133D5E
	v_mfma_i32_16x16x32_i8 v[200:203], a[64:65], v[160:161], 0 // 00000002D664: D3D700C8 0A034140
	v_mfma_i32_16x16x32_i8 v[200:203], a[66:67], v[162:163], v[200:203]// 00000002D66C: D3D700C8 0F234542
	v_mfma_i32_16x16x32_i8 v[200:203], a[68:69], v[164:165], v[200:203]// 00000002D674: D3D700C8 0F234944
	v_mfma_i32_16x16x32_i8 v[200:203], a[70:71], v[166:167], v[200:203]// 00000002D67C: D3D700C8 0F234D46
	v_mfma_i32_16x16x32_i8 v[200:203], a[72:73], v[168:169], v[200:203]// 00000002D684: D3D700C8 0F235148
	v_mfma_i32_16x16x32_i8 v[200:203], a[74:75], v[170:171], v[200:203]// 00000002D68C: D3D700C8 0F23554A
	v_mfma_i32_16x16x32_i8 v[200:203], a[76:77], v[172:173], v[200:203]// 00000002D694: D3D700C8 0F23594C
	v_mfma_i32_16x16x32_i8 v[200:203], a[78:79], v[174:175], v[200:203]// 00000002D69C: D3D700C8 0F235D4E
	v_mfma_i32_16x16x32_i8 v[204:207], a[80:81], v[160:161], 0 // 00000002D6A4: D3D700CC 0A034150
	v_mfma_i32_16x16x32_i8 v[204:207], a[82:83], v[162:163], v[204:207]// 00000002D6AC: D3D700CC 0F334552
	v_mfma_i32_16x16x32_i8 v[204:207], a[84:85], v[164:165], v[204:207]// 00000002D6B4: D3D700CC 0F334954
	v_mfma_i32_16x16x32_i8 v[204:207], a[86:87], v[166:167], v[204:207]// 00000002D6BC: D3D700CC 0F334D56
	v_mfma_i32_16x16x32_i8 v[204:207], a[88:89], v[168:169], v[204:207]// 00000002D6C4: D3D700CC 0F335158
	v_mfma_i32_16x16x32_i8 v[204:207], a[90:91], v[170:171], v[204:207]// 00000002D6CC: D3D700CC 0F33555A
	v_mfma_i32_16x16x32_i8 v[204:207], a[92:93], v[172:173], v[204:207]// 00000002D6D4: D3D700CC 0F33595C
	v_mfma_i32_16x16x32_i8 v[204:207], a[94:95], v[174:175], v[204:207]// 00000002D6DC: D3D700CC 0F335D5E
	s_nop 4                                                    // 00000002D6E4: BF800004
	s_branch label_B96A                                        // 00000002D6E8: BF820C2F

000000000002d6ec <label_AD3B>:
	s_waitcnt vmcnt(8) lgkmcnt(0)                              // 00000002D6EC: BF8C0078
	s_barrier                                                  // 00000002D6F0: BF8A0000
	v_mfma_i32_16x16x32_i8 v[112:115], a[32:33], v[80:81], 0   // 00000002D6F4: D3D70070 0A02A120
	v_mfma_i32_16x16x32_i8 v[112:115], a[34:35], v[82:83], v[112:115]// 00000002D6FC: D3D70070 0DC2A522
	v_mfma_i32_16x16x32_i8 v[112:115], a[36:37], v[84:85], v[112:115]// 00000002D704: D3D70070 0DC2A924
	v_mfma_i32_16x16x32_i8 v[112:115], a[38:39], v[86:87], v[112:115]// 00000002D70C: D3D70070 0DC2AD26
	v_mfma_i32_16x16x32_i8 v[116:119], a[40:41], v[80:81], 0   // 00000002D714: D3D70074 0A02A128
	v_mfma_i32_16x16x32_i8 v[116:119], a[42:43], v[82:83], v[116:119]// 00000002D71C: D3D70074 0DD2A52A
	v_mfma_i32_16x16x32_i8 v[116:119], a[44:45], v[84:85], v[116:119]// 00000002D724: D3D70074 0DD2A92C
	v_mfma_i32_16x16x32_i8 v[116:119], a[46:47], v[86:87], v[116:119]// 00000002D72C: D3D70074 0DD2AD2E
	v_mfma_i32_16x16x32_i8 v[120:123], a[48:49], v[80:81], 0   // 00000002D734: D3D70078 0A02A130
	v_mfma_i32_16x16x32_i8 v[120:123], a[50:51], v[82:83], v[120:123]// 00000002D73C: D3D70078 0DE2A532
	v_mfma_i32_16x16x32_i8 v[120:123], a[52:53], v[84:85], v[120:123]// 00000002D744: D3D70078 0DE2A934
	v_mfma_i32_16x16x32_i8 v[120:123], a[54:55], v[86:87], v[120:123]// 00000002D74C: D3D70078 0DE2AD36
	v_mfma_i32_16x16x32_i8 v[124:127], a[56:57], v[80:81], 0   // 00000002D754: D3D7007C 0A02A138
	v_mfma_i32_16x16x32_i8 v[124:127], a[58:59], v[82:83], v[124:127]// 00000002D75C: D3D7007C 0DF2A53A
	v_mfma_i32_16x16x32_i8 v[124:127], a[60:61], v[84:85], v[124:127]// 00000002D764: D3D7007C 0DF2A93C
	v_mfma_i32_16x16x32_i8 v[124:127], a[62:63], v[86:87], v[124:127]// 00000002D76C: D3D7007C 0DF2AD3E
	v_mfma_i32_16x16x32_i8 v[128:131], a[32:33], v[88:89], 0   // 00000002D774: D3D70080 0A02B120
	v_mfma_i32_16x16x32_i8 v[128:131], a[34:35], v[90:91], v[128:131]// 00000002D77C: D3D70080 0E02B522
	v_mfma_i32_16x16x32_i8 v[128:131], a[36:37], v[92:93], v[128:131]// 00000002D784: D3D70080 0E02B924
	v_mfma_i32_16x16x32_i8 v[128:131], a[38:39], v[94:95], v[128:131]// 00000002D78C: D3D70080 0E02BD26
	v_mfma_i32_16x16x32_i8 v[132:135], a[40:41], v[88:89], 0   // 00000002D794: D3D70084 0A02B128
	v_mfma_i32_16x16x32_i8 v[132:135], a[42:43], v[90:91], v[132:135]// 00000002D79C: D3D70084 0E12B52A
	v_mfma_i32_16x16x32_i8 v[132:135], a[44:45], v[92:93], v[132:135]// 00000002D7A4: D3D70084 0E12B92C
	v_mfma_i32_16x16x32_i8 v[132:135], a[46:47], v[94:95], v[132:135]// 00000002D7AC: D3D70084 0E12BD2E
	v_mfma_i32_16x16x32_i8 v[136:139], a[48:49], v[88:89], 0   // 00000002D7B4: D3D70088 0A02B130
	v_mfma_i32_16x16x32_i8 v[136:139], a[50:51], v[90:91], v[136:139]// 00000002D7BC: D3D70088 0E22B532
	v_mfma_i32_16x16x32_i8 v[136:139], a[52:53], v[92:93], v[136:139]// 00000002D7C4: D3D70088 0E22B934
	v_mfma_i32_16x16x32_i8 v[136:139], a[54:55], v[94:95], v[136:139]// 00000002D7CC: D3D70088 0E22BD36
	v_mfma_i32_16x16x32_i8 v[140:143], a[56:57], v[88:89], 0   // 00000002D7D4: D3D7008C 0A02B138
	v_mfma_i32_16x16x32_i8 v[140:143], a[58:59], v[90:91], v[140:143]// 00000002D7DC: D3D7008C 0E32B53A
	v_mfma_i32_16x16x32_i8 v[140:143], a[60:61], v[92:93], v[140:143]// 00000002D7E4: D3D7008C 0E32B93C
	v_mfma_i32_16x16x32_i8 v[140:143], a[62:63], v[94:95], v[140:143]// 00000002D7EC: D3D7008C 0E32BD3E
	v_mfma_i32_16x16x32_i8 v[144:147], a[32:33], v[96:97], 0   // 00000002D7F4: D3D70090 0A02C120
	v_mfma_i32_16x16x32_i8 v[144:147], a[34:35], v[98:99], v[144:147]// 00000002D7FC: D3D70090 0E42C522
	v_mfma_i32_16x16x32_i8 v[144:147], a[36:37], v[100:101], v[144:147]// 00000002D804: D3D70090 0E42C924
	v_mfma_i32_16x16x32_i8 v[144:147], a[38:39], v[102:103], v[144:147]// 00000002D80C: D3D70090 0E42CD26
	v_mfma_i32_16x16x32_i8 v[148:151], a[40:41], v[96:97], 0   // 00000002D814: D3D70094 0A02C128
	v_mfma_i32_16x16x32_i8 v[148:151], a[42:43], v[98:99], v[148:151]// 00000002D81C: D3D70094 0E52C52A
	v_mfma_i32_16x16x32_i8 v[148:151], a[44:45], v[100:101], v[148:151]// 00000002D824: D3D70094 0E52C92C
	v_mfma_i32_16x16x32_i8 v[148:151], a[46:47], v[102:103], v[148:151]// 00000002D82C: D3D70094 0E52CD2E
	v_mfma_i32_16x16x32_i8 v[152:155], a[48:49], v[96:97], 0   // 00000002D834: D3D70098 0A02C130
	v_mfma_i32_16x16x32_i8 v[152:155], a[50:51], v[98:99], v[152:155]// 00000002D83C: D3D70098 0E62C532
	v_mfma_i32_16x16x32_i8 v[152:155], a[52:53], v[100:101], v[152:155]// 00000002D844: D3D70098 0E62C934
	v_mfma_i32_16x16x32_i8 v[152:155], a[54:55], v[102:103], v[152:155]// 00000002D84C: D3D70098 0E62CD36
	v_mfma_i32_16x16x32_i8 v[156:159], a[56:57], v[96:97], 0   // 00000002D854: D3D7009C 0A02C138
	v_mfma_i32_16x16x32_i8 v[156:159], a[58:59], v[98:99], v[156:159]// 00000002D85C: D3D7009C 0E72C53A
	v_mfma_i32_16x16x32_i8 v[156:159], a[60:61], v[100:101], v[156:159]// 00000002D864: D3D7009C 0E72C93C
	v_mfma_i32_16x16x32_i8 v[156:159], a[62:63], v[102:103], v[156:159]// 00000002D86C: D3D7009C 0E72CD3E
	v_mfma_i32_16x16x32_i8 v[160:163], a[32:33], v[104:105], 0 // 00000002D874: D3D700A0 0A02D120
	v_mfma_i32_16x16x32_i8 v[160:163], a[34:35], v[106:107], v[160:163]// 00000002D87C: D3D700A0 0E82D522
	v_mfma_i32_16x16x32_i8 v[160:163], a[36:37], v[108:109], v[160:163]// 00000002D884: D3D700A0 0E82D924
	v_mfma_i32_16x16x32_i8 v[160:163], a[38:39], v[110:111], v[160:163]// 00000002D88C: D3D700A0 0E82DD26
	v_mfma_i32_16x16x32_i8 v[164:167], a[40:41], v[104:105], 0 // 00000002D894: D3D700A4 0A02D128
	v_mfma_i32_16x16x32_i8 v[164:167], a[42:43], v[106:107], v[164:167]// 00000002D89C: D3D700A4 0E92D52A
	v_mfma_i32_16x16x32_i8 v[164:167], a[44:45], v[108:109], v[164:167]// 00000002D8A4: D3D700A4 0E92D92C
	v_mfma_i32_16x16x32_i8 v[164:167], a[46:47], v[110:111], v[164:167]// 00000002D8AC: D3D700A4 0E92DD2E
	v_mfma_i32_16x16x32_i8 v[168:171], a[48:49], v[104:105], 0 // 00000002D8B4: D3D700A8 0A02D130
	v_mfma_i32_16x16x32_i8 v[168:171], a[50:51], v[106:107], v[168:171]// 00000002D8BC: D3D700A8 0EA2D532
	v_mfma_i32_16x16x32_i8 v[168:171], a[52:53], v[108:109], v[168:171]// 00000002D8C4: D3D700A8 0EA2D934
	v_mfma_i32_16x16x32_i8 v[168:171], a[54:55], v[110:111], v[168:171]// 00000002D8CC: D3D700A8 0EA2DD36
	v_mfma_i32_16x16x32_i8 v[172:175], a[56:57], v[104:105], 0 // 00000002D8D4: D3D700AC 0A02D138
	v_mfma_i32_16x16x32_i8 v[172:175], a[58:59], v[106:107], v[172:175]// 00000002D8DC: D3D700AC 0EB2D53A
	v_mfma_i32_16x16x32_i8 v[172:175], a[60:61], v[108:109], v[172:175]// 00000002D8E4: D3D700AC 0EB2D93C
	v_mfma_i32_16x16x32_i8 v[172:175], a[62:63], v[110:111], v[172:175]// 00000002D8EC: D3D700AC 0EB2DD3E
	v_mov_b32_dpp v64, v43 row_shr:4 row_mask:0xf bank_mask:0xf// 00000002D8F4: 7E8002FA FF01142B
	v_mov_b32_dpp v65, v43 row_shl:4 row_mask:0xf bank_mask:0xf// 00000002D8FC: 7E8202FA FF01042B
	v_cndmask_b32_e64 v248, v43, v64, s[44:45]                 // 00000002D904: D10000F8 00B2812B
	v_cndmask_b32_e64 v249, v65, v43, s[44:45]                 // 00000002D90C: D10000F9 00B25741
	v_mov_b32_dpp v64, v248 row_shr:8 row_mask:0xf bank_mask:0xf// 00000002D914: 7E8002FA FF0118F8
	v_mov_b32_dpp v65, v248 row_shl:8 row_mask:0xf bank_mask:0xf// 00000002D91C: 7E8202FA FF0108F8
	v_mov_b32_dpp v66, v249 row_shr:8 row_mask:0xf bank_mask:0xf// 00000002D924: 7E8402FA FF0118F9
	v_mov_b32_dpp v67, v249 row_shl:8 row_mask:0xf bank_mask:0xf// 00000002D92C: 7E8602FA FF0108F9
	v_mov_b32_e32 v68, v248                                    // 00000002D934: 7E8803F8
	v_mov_b32_e32 v69, v249                                    // 00000002D938: 7E8A03F9
	v_cndmask_b32_e64 v248, v68, v64, s[42:43]                 // 00000002D93C: D10000F8 00AA8144
	v_cndmask_b32_e64 v250, v68, v65, s[78:79]                 // 00000002D944: D10000FA 013A8344
	v_cndmask_b32_e64 v249, v69, v66, s[42:43]                 // 00000002D94C: D10000F9 00AA8545
	v_cndmask_b32_e64 v251, v69, v67, s[78:79]                 // 00000002D954: D10000FB 013A8745
	v_mov_b32_dpp v64, v58 row_shr:4 row_mask:0xf bank_mask:0xf// 00000002D95C: 7E8002FA FF01143A
	v_mov_b32_dpp v65, v58 row_shl:4 row_mask:0xf bank_mask:0xf// 00000002D964: 7E8202FA FF01043A
	v_cndmask_b32_e64 v252, v58, v64, s[44:45]                 // 00000002D96C: D10000FC 00B2813A
	v_cndmask_b32_e64 v253, v65, v58, s[44:45]                 // 00000002D974: D10000FD 00B27541
	v_mov_b32_dpp v64, v252 row_shr:8 row_mask:0xf bank_mask:0xf// 00000002D97C: 7E8002FA FF0118FC
	v_mov_b32_dpp v65, v252 row_shl:8 row_mask:0xf bank_mask:0xf// 00000002D984: 7E8202FA FF0108FC
	v_mov_b32_dpp v66, v253 row_shr:8 row_mask:0xf bank_mask:0xf// 00000002D98C: 7E8402FA FF0118FD
	v_mov_b32_dpp v67, v253 row_shl:8 row_mask:0xf bank_mask:0xf// 00000002D994: 7E8602FA FF0108FD
	v_mov_b32_e32 v68, v252                                    // 00000002D99C: 7E8803FC
	v_mov_b32_e32 v69, v253                                    // 00000002D9A0: 7E8A03FD
	v_cndmask_b32_e64 v252, v68, v64, s[42:43]                 // 00000002D9A4: D10000FC 00AA8144
	v_cndmask_b32_e64 v254, v68, v65, s[78:79]                 // 00000002D9AC: D10000FE 013A8344
	v_cndmask_b32_e64 v253, v69, v66, s[42:43]                 // 00000002D9B4: D10000FD 00AA8545
	v_cndmask_b32_e64 v255, v69, v67, s[78:79]                 // 00000002D9BC: D10000FF 013A8745
	v_cvt_f32_i32_e32 v112, v112                               // 00000002D9C4: 7EE00B70
	v_cvt_f32_i32_e32 v113, v113                               // 00000002D9C8: 7EE20B71
	v_cvt_f32_i32_e32 v114, v114                               // 00000002D9CC: 7EE40B72
	v_cvt_f32_i32_e32 v115, v115                               // 00000002D9D0: 7EE60B73
	v_cvt_f32_i32_e32 v116, v116                               // 00000002D9D4: 7EE80B74
	v_cvt_f32_i32_e32 v117, v117                               // 00000002D9D8: 7EEA0B75
	v_cvt_f32_i32_e32 v118, v118                               // 00000002D9DC: 7EEC0B76
	v_cvt_f32_i32_e32 v119, v119                               // 00000002D9E0: 7EEE0B77
	v_cvt_f32_i32_e32 v120, v120                               // 00000002D9E4: 7EF00B78
	v_cvt_f32_i32_e32 v121, v121                               // 00000002D9E8: 7EF20B79
	v_cvt_f32_i32_e32 v122, v122                               // 00000002D9EC: 7EF40B7A
	v_cvt_f32_i32_e32 v123, v123                               // 00000002D9F0: 7EF60B7B
	v_cvt_f32_i32_e32 v124, v124                               // 00000002D9F4: 7EF80B7C
	v_cvt_f32_i32_e32 v125, v125                               // 00000002D9F8: 7EFA0B7D
	v_cvt_f32_i32_e32 v126, v126                               // 00000002D9FC: 7EFC0B7E
	v_cvt_f32_i32_e32 v127, v127                               // 00000002DA00: 7EFE0B7F
	v_mul_f32_e32 v112, v18, v112                              // 00000002DA04: 0AE0E112
	v_mul_f32_e32 v113, v18, v113                              // 00000002DA08: 0AE2E312
	v_mul_f32_e32 v114, v18, v114                              // 00000002DA0C: 0AE4E512
	v_mul_f32_e32 v115, v18, v115                              // 00000002DA10: 0AE6E712
	v_mul_f32_e32 v116, v18, v116                              // 00000002DA14: 0AE8E912
	v_mul_f32_e32 v117, v18, v117                              // 00000002DA18: 0AEAEB12
	v_mul_f32_e32 v118, v18, v118                              // 00000002DA1C: 0AECED12
	v_mul_f32_e32 v119, v18, v119                              // 00000002DA20: 0AEEEF12
	v_mul_f32_e32 v120, v18, v120                              // 00000002DA24: 0AF0F112
	v_mul_f32_e32 v121, v18, v121                              // 00000002DA28: 0AF2F312
	v_mul_f32_e32 v122, v18, v122                              // 00000002DA2C: 0AF4F512
	v_mul_f32_e32 v123, v18, v123                              // 00000002DA30: 0AF6F712
	v_mul_f32_e32 v124, v18, v124                              // 00000002DA34: 0AF8F912
	v_mul_f32_e32 v125, v18, v125                              // 00000002DA38: 0AFAFB12
	v_mul_f32_e32 v126, v18, v126                              // 00000002DA3C: 0AFCFD12
	v_mul_f32_e32 v127, v18, v127                              // 00000002DA40: 0AFEFF12
	v_mul_f32_dpp v112, v248, v112 quad_perm:[0,0,0,0] row_mask:0xf bank_mask:0xf// 00000002DA44: 0AE0E0FA FF0000F8
	v_mul_f32_dpp v113, v248, v113 quad_perm:[1,1,1,1] row_mask:0xf bank_mask:0xf// 00000002DA4C: 0AE2E2FA FF0055F8
	v_mul_f32_dpp v114, v248, v114 quad_perm:[2,2,2,2] row_mask:0xf bank_mask:0xf// 00000002DA54: 0AE4E4FA FF00AAF8
	v_mul_f32_dpp v115, v248, v115 quad_perm:[3,3,3,3] row_mask:0xf bank_mask:0xf// 00000002DA5C: 0AE6E6FA FF00FFF8
	v_mul_f32_dpp v116, v249, v116 quad_perm:[0,0,0,0] row_mask:0xf bank_mask:0xf// 00000002DA64: 0AE8E8FA FF0000F9
	v_mul_f32_dpp v117, v249, v117 quad_perm:[1,1,1,1] row_mask:0xf bank_mask:0xf// 00000002DA6C: 0AEAEAFA FF0055F9
	v_mul_f32_dpp v118, v249, v118 quad_perm:[2,2,2,2] row_mask:0xf bank_mask:0xf// 00000002DA74: 0AECECFA FF00AAF9
	v_mul_f32_dpp v119, v249, v119 quad_perm:[3,3,3,3] row_mask:0xf bank_mask:0xf// 00000002DA7C: 0AEEEEFA FF00FFF9
	v_mul_f32_dpp v120, v250, v120 quad_perm:[0,0,0,0] row_mask:0xf bank_mask:0xf// 00000002DA84: 0AF0F0FA FF0000FA
	v_mul_f32_dpp v121, v250, v121 quad_perm:[1,1,1,1] row_mask:0xf bank_mask:0xf// 00000002DA8C: 0AF2F2FA FF0055FA
	v_mul_f32_dpp v122, v250, v122 quad_perm:[2,2,2,2] row_mask:0xf bank_mask:0xf// 00000002DA94: 0AF4F4FA FF00AAFA
	v_mul_f32_dpp v123, v250, v123 quad_perm:[3,3,3,3] row_mask:0xf bank_mask:0xf// 00000002DA9C: 0AF6F6FA FF00FFFA
	v_mul_f32_dpp v124, v251, v124 quad_perm:[0,0,0,0] row_mask:0xf bank_mask:0xf// 00000002DAA4: 0AF8F8FA FF0000FB
	v_mul_f32_dpp v125, v251, v125 quad_perm:[1,1,1,1] row_mask:0xf bank_mask:0xf// 00000002DAAC: 0AFAFAFA FF0055FB
	v_mul_f32_dpp v126, v251, v126 quad_perm:[2,2,2,2] row_mask:0xf bank_mask:0xf// 00000002DAB4: 0AFCFCFA FF00AAFB
	v_mul_f32_dpp v127, v251, v127 quad_perm:[3,3,3,3] row_mask:0xf bank_mask:0xf// 00000002DABC: 0AFEFEFA FF00FFFB
	s_cmp_le_i32 s90, s89                                      // 00000002DAC4: BF05595A
	s_cbranch_scc1 label_AEA4                                  // 00000002DAC8: BF850071
	v_mov_b32_e32 v66, 0xff800000                              // 00000002DACC: 7E8402FF FF800000
	s_mov_b32 s60, s90                                         // 00000002DAD4: BEBC005A
	s_add_u32 s61, s89, 0xff                                   // 00000002DAD8: 803DFF59 000000FF
	v_mov_b32_e32 v64, s61                                     // 00000002DAE0: 7E80023D
	v_lshrrev_b32_e32 v240, 4, v0                              // 00000002DAE4: 21E00084
	v_mul_i32_i24_e32 v240, 4, v240                            // 00000002DAE8: 0DE1E084
	v_add_u32_e32 v240, s60, v240                              // 00000002DAEC: 69E1E03C
	s_mov_b32 s61, 0                                           // 00000002DAF0: BEBD0080
	s_mul_i32 s60, 16, s7                                      // 00000002DAF4: 923C0790
	v_sub_u32_e64 v240, v240, s61                              // 00000002DAF8: D13500F0 00007BF0
	v_add_u32_e32 v240, s60, v240                              // 00000002DB00: 69E1E03C
	v_add_u32_e32 v241, 1, v240                                // 00000002DB04: 69E3E081
	v_add_u32_e32 v242, 2, v240                                // 00000002DB08: 69E5E082
	v_add_u32_e32 v243, 3, v240                                // 00000002DB0C: 69E7E083
	v_cmp_le_u32_e64 s[40:41], v240, v64                       // 00000002DB10: D0CB0028 000281F0
	v_add_u32_e32 v240, 64, v240                               // 00000002DB18: 69E1E0C0
	s_nop 0                                                    // 00000002DB1C: BF800000
	v_cndmask_b32_e64 v112, v66, v112, s[40:41]                // 00000002DB20: D1000070 00A2E142
	v_cmp_le_u32_e64 s[40:41], v241, v64                       // 00000002DB28: D0CB0028 000281F1
	v_add_u32_e32 v241, 64, v241                               // 00000002DB30: 69E3E2C0
	s_nop 0                                                    // 00000002DB34: BF800000
	v_cndmask_b32_e64 v113, v66, v113, s[40:41]                // 00000002DB38: D1000071 00A2E342
	v_cmp_le_u32_e64 s[40:41], v242, v64                       // 00000002DB40: D0CB0028 000281F2
	v_add_u32_e32 v242, 64, v242                               // 00000002DB48: 69E5E4C0
	s_nop 0                                                    // 00000002DB4C: BF800000
	v_cndmask_b32_e64 v114, v66, v114, s[40:41]                // 00000002DB50: D1000072 00A2E542
	v_cmp_le_u32_e64 s[40:41], v243, v64                       // 00000002DB58: D0CB0028 000281F3
	v_add_u32_e32 v243, 64, v243                               // 00000002DB60: 69E7E6C0
	s_nop 0                                                    // 00000002DB64: BF800000
	v_cndmask_b32_e64 v115, v66, v115, s[40:41]                // 00000002DB68: D1000073 00A2E742
	v_cmp_le_u32_e64 s[40:41], v240, v64                       // 00000002DB70: D0CB0028 000281F0
	v_add_u32_e32 v240, 64, v240                               // 00000002DB78: 69E1E0C0
	s_nop 0                                                    // 00000002DB7C: BF800000
	v_cndmask_b32_e64 v116, v66, v116, s[40:41]                // 00000002DB80: D1000074 00A2E942
	v_cmp_le_u32_e64 s[40:41], v241, v64                       // 00000002DB88: D0CB0028 000281F1
	v_add_u32_e32 v241, 64, v241                               // 00000002DB90: 69E3E2C0
	s_nop 0                                                    // 00000002DB94: BF800000
	v_cndmask_b32_e64 v117, v66, v117, s[40:41]                // 00000002DB98: D1000075 00A2EB42
	v_cmp_le_u32_e64 s[40:41], v242, v64                       // 00000002DBA0: D0CB0028 000281F2
	v_add_u32_e32 v242, 64, v242                               // 00000002DBA8: 69E5E4C0
	s_nop 0                                                    // 00000002DBAC: BF800000
	v_cndmask_b32_e64 v118, v66, v118, s[40:41]                // 00000002DBB0: D1000076 00A2ED42
	v_cmp_le_u32_e64 s[40:41], v243, v64                       // 00000002DBB8: D0CB0028 000281F3
	v_add_u32_e32 v243, 64, v243                               // 00000002DBC0: 69E7E6C0
	s_nop 0                                                    // 00000002DBC4: BF800000
	v_cndmask_b32_e64 v119, v66, v119, s[40:41]                // 00000002DBC8: D1000077 00A2EF42
	v_cmp_le_u32_e64 s[40:41], v240, v64                       // 00000002DBD0: D0CB0028 000281F0
	v_add_u32_e32 v240, 64, v240                               // 00000002DBD8: 69E1E0C0
	s_nop 0                                                    // 00000002DBDC: BF800000
	v_cndmask_b32_e64 v120, v66, v120, s[40:41]                // 00000002DBE0: D1000078 00A2F142
	v_cmp_le_u32_e64 s[40:41], v241, v64                       // 00000002DBE8: D0CB0028 000281F1
	v_add_u32_e32 v241, 64, v241                               // 00000002DBF0: 69E3E2C0
	s_nop 0                                                    // 00000002DBF4: BF800000
	v_cndmask_b32_e64 v121, v66, v121, s[40:41]                // 00000002DBF8: D1000079 00A2F342
	v_cmp_le_u32_e64 s[40:41], v242, v64                       // 00000002DC00: D0CB0028 000281F2
	v_add_u32_e32 v242, 64, v242                               // 00000002DC08: 69E5E4C0
	s_nop 0                                                    // 00000002DC0C: BF800000
	v_cndmask_b32_e64 v122, v66, v122, s[40:41]                // 00000002DC10: D100007A 00A2F542
	v_cmp_le_u32_e64 s[40:41], v243, v64                       // 00000002DC18: D0CB0028 000281F3
	v_add_u32_e32 v243, 64, v243                               // 00000002DC20: 69E7E6C0
	s_nop 0                                                    // 00000002DC24: BF800000
	v_cndmask_b32_e64 v123, v66, v123, s[40:41]                // 00000002DC28: D100007B 00A2F742
	v_cmp_le_u32_e64 s[40:41], v240, v64                       // 00000002DC30: D0CB0028 000281F0
	v_add_u32_e32 v240, 64, v240                               // 00000002DC38: 69E1E0C0
	s_nop 0                                                    // 00000002DC3C: BF800000
	v_cndmask_b32_e64 v124, v66, v124, s[40:41]                // 00000002DC40: D100007C 00A2F942
	v_cmp_le_u32_e64 s[40:41], v241, v64                       // 00000002DC48: D0CB0028 000281F1
	v_add_u32_e32 v241, 64, v241                               // 00000002DC50: 69E3E2C0
	s_nop 0                                                    // 00000002DC54: BF800000
	v_cndmask_b32_e64 v125, v66, v125, s[40:41]                // 00000002DC58: D100007D 00A2FB42
	v_cmp_le_u32_e64 s[40:41], v242, v64                       // 00000002DC60: D0CB0028 000281F2
	v_add_u32_e32 v242, 64, v242                               // 00000002DC68: 69E5E4C0
	s_nop 0                                                    // 00000002DC6C: BF800000
	v_cndmask_b32_e64 v126, v66, v126, s[40:41]                // 00000002DC70: D100007E 00A2FD42
	v_cmp_le_u32_e64 s[40:41], v243, v64                       // 00000002DC78: D0CB0028 000281F3
	v_add_u32_e32 v243, 64, v243                               // 00000002DC80: 69E7E6C0
	s_nop 0                                                    // 00000002DC84: BF800000
	v_cndmask_b32_e64 v127, v66, v127, s[40:41]                // 00000002DC88: D100007F 00A2FF42

000000000002dc90 <label_AEA4>:
	s_and_b32 s60, s72, 0xff                                   // 00000002DC90: 863CFF48 000000FF
	v_mov_b32_e32 v65, s60                                     // 00000002DC98: 7E82023C
	v_lshrrev_b32_e32 v240, 4, v0                              // 00000002DC9C: 21E00084
	v_mul_i32_i24_e32 v240, 4, v240                            // 00000002DCA0: 0DE1E084
	s_mul_i32 s60, s7, 16                                      // 00000002DCA4: 923C9007
	v_add_u32_e32 v240, s60, v240                              // 00000002DCA8: 69E1E03C
	v_add_u32_e32 v241, 1, v240                                // 00000002DCAC: 69E3E081
	v_add_u32_e32 v242, 2, v240                                // 00000002DCB0: 69E5E082
	v_add_u32_e32 v243, 3, v240                                // 00000002DCB4: 69E7E083
	v_mov_b32_e32 v64, 0xff800000                              // 00000002DCB8: 7E8002FF FF800000
	v_cmp_lt_u32_e64 s[40:41], v240, v65                       // 00000002DCC0: D0C90028 000283F0
	v_add_u32_e32 v240, 64, v240                               // 00000002DCC8: 69E1E0C0
	s_nop 0                                                    // 00000002DCCC: BF800000
	v_cndmask_b32_e64 v112, v64, v112, s[40:41]                // 00000002DCD0: D1000070 00A2E140
	v_cmp_lt_u32_e64 s[40:41], v241, v65                       // 00000002DCD8: D0C90028 000283F1
	v_add_u32_e32 v241, 64, v241                               // 00000002DCE0: 69E3E2C0
	s_nop 0                                                    // 00000002DCE4: BF800000
	v_cndmask_b32_e64 v113, v64, v113, s[40:41]                // 00000002DCE8: D1000071 00A2E340
	v_cmp_lt_u32_e64 s[40:41], v242, v65                       // 00000002DCF0: D0C90028 000283F2
	v_add_u32_e32 v242, 64, v242                               // 00000002DCF8: 69E5E4C0
	s_nop 0                                                    // 00000002DCFC: BF800000
	v_cndmask_b32_e64 v114, v64, v114, s[40:41]                // 00000002DD00: D1000072 00A2E540
	v_cmp_lt_u32_e64 s[40:41], v243, v65                       // 00000002DD08: D0C90028 000283F3
	v_add_u32_e32 v243, 64, v243                               // 00000002DD10: 69E7E6C0
	s_nop 0                                                    // 00000002DD14: BF800000
	v_cndmask_b32_e64 v115, v64, v115, s[40:41]                // 00000002DD18: D1000073 00A2E740
	v_cmp_lt_u32_e64 s[40:41], v240, v65                       // 00000002DD20: D0C90028 000283F0
	v_add_u32_e32 v240, 64, v240                               // 00000002DD28: 69E1E0C0
	s_nop 0                                                    // 00000002DD2C: BF800000
	v_cndmask_b32_e64 v116, v64, v116, s[40:41]                // 00000002DD30: D1000074 00A2E940
	v_cmp_lt_u32_e64 s[40:41], v241, v65                       // 00000002DD38: D0C90028 000283F1
	v_add_u32_e32 v241, 64, v241                               // 00000002DD40: 69E3E2C0
	s_nop 0                                                    // 00000002DD44: BF800000
	v_cndmask_b32_e64 v117, v64, v117, s[40:41]                // 00000002DD48: D1000075 00A2EB40
	v_cmp_lt_u32_e64 s[40:41], v242, v65                       // 00000002DD50: D0C90028 000283F2
	v_add_u32_e32 v242, 64, v242                               // 00000002DD58: 69E5E4C0
	s_nop 0                                                    // 00000002DD5C: BF800000
	v_cndmask_b32_e64 v118, v64, v118, s[40:41]                // 00000002DD60: D1000076 00A2ED40
	v_cmp_lt_u32_e64 s[40:41], v243, v65                       // 00000002DD68: D0C90028 000283F3
	v_add_u32_e32 v243, 64, v243                               // 00000002DD70: 69E7E6C0
	s_nop 0                                                    // 00000002DD74: BF800000
	v_cndmask_b32_e64 v119, v64, v119, s[40:41]                // 00000002DD78: D1000077 00A2EF40
	v_cmp_lt_u32_e64 s[40:41], v240, v65                       // 00000002DD80: D0C90028 000283F0
	v_add_u32_e32 v240, 64, v240                               // 00000002DD88: 69E1E0C0
	s_nop 0                                                    // 00000002DD8C: BF800000
	v_cndmask_b32_e64 v120, v64, v120, s[40:41]                // 00000002DD90: D1000078 00A2F140
	v_cmp_lt_u32_e64 s[40:41], v241, v65                       // 00000002DD98: D0C90028 000283F1
	v_add_u32_e32 v241, 64, v241                               // 00000002DDA0: 69E3E2C0
	s_nop 0                                                    // 00000002DDA4: BF800000
	v_cndmask_b32_e64 v121, v64, v121, s[40:41]                // 00000002DDA8: D1000079 00A2F340
	v_cmp_lt_u32_e64 s[40:41], v242, v65                       // 00000002DDB0: D0C90028 000283F2
	v_add_u32_e32 v242, 64, v242                               // 00000002DDB8: 69E5E4C0
	s_nop 0                                                    // 00000002DDBC: BF800000
	v_cndmask_b32_e64 v122, v64, v122, s[40:41]                // 00000002DDC0: D100007A 00A2F540
	v_cmp_lt_u32_e64 s[40:41], v243, v65                       // 00000002DDC8: D0C90028 000283F3
	v_add_u32_e32 v243, 64, v243                               // 00000002DDD0: 69E7E6C0
	s_nop 0                                                    // 00000002DDD4: BF800000
	v_cndmask_b32_e64 v123, v64, v123, s[40:41]                // 00000002DDD8: D100007B 00A2F740
	v_cmp_lt_u32_e64 s[40:41], v240, v65                       // 00000002DDE0: D0C90028 000283F0
	v_add_u32_e32 v240, 64, v240                               // 00000002DDE8: 69E1E0C0
	s_nop 0                                                    // 00000002DDEC: BF800000
	v_cndmask_b32_e64 v124, v64, v124, s[40:41]                // 00000002DDF0: D100007C 00A2F940
	v_cmp_lt_u32_e64 s[40:41], v241, v65                       // 00000002DDF8: D0C90028 000283F1
	v_add_u32_e32 v241, 64, v241                               // 00000002DE00: 69E3E2C0
	s_nop 0                                                    // 00000002DE04: BF800000
	v_cndmask_b32_e64 v125, v64, v125, s[40:41]                // 00000002DE08: D100007D 00A2FB40
	v_cmp_lt_u32_e64 s[40:41], v242, v65                       // 00000002DE10: D0C90028 000283F2
	v_add_u32_e32 v242, 64, v242                               // 00000002DE18: 69E5E4C0
	s_nop 0                                                    // 00000002DE1C: BF800000
	v_cndmask_b32_e64 v126, v64, v126, s[40:41]                // 00000002DE20: D100007E 00A2FD40
	v_cmp_lt_u32_e64 s[40:41], v243, v65                       // 00000002DE28: D0C90028 000283F3
	v_add_u32_e32 v243, 64, v243                               // 00000002DE30: 69E7E6C0
	s_nop 0                                                    // 00000002DE34: BF800000
	v_cndmask_b32_e64 v127, v64, v127, s[40:41]                // 00000002DE38: D100007F 00A2FF40
	v_mov_b32_e32 v48, v112                                    // 00000002DE40: 7E600370
	v_max3_f32 v48, v112, v113, v48                            // 00000002DE44: D1D30030 04C2E370
	v_max3_f32 v48, v114, v115, v48                            // 00000002DE4C: D1D30030 04C2E772
	v_max3_f32 v48, v116, v117, v48                            // 00000002DE54: D1D30030 04C2EB74
	v_max3_f32 v48, v118, v119, v48                            // 00000002DE5C: D1D30030 04C2EF76
	v_max3_f32 v48, v120, v121, v48                            // 00000002DE64: D1D30030 04C2F378
	v_max3_f32 v48, v122, v123, v48                            // 00000002DE6C: D1D30030 04C2F77A
	v_max3_f32 v48, v124, v125, v48                            // 00000002DE74: D1D30030 04C2FB7C
	v_max3_f32 v48, v126, v127, v48                            // 00000002DE7C: D1D30030 04C2FF7E
	ds_write_b32 v8, v48 offset:16896                          // 00000002DE84: D81A4200 00003008
	v_mul_u32_u24_dpp v64, v16, v54 row_newbcast:1 row_mask:0xf bank_mask:0xf// 00000002DE8C: 10806CFA FF015110
	v_mul_u32_u24_dpp v65, v16, v54 row_newbcast:5 row_mask:0xf bank_mask:0xf// 00000002DE94: 10826CFA FF015510
	v_mul_u32_u24_dpp v66, v16, v54 row_newbcast:9 row_mask:0xf bank_mask:0xf// 00000002DE9C: 10846CFA FF015910
	v_mul_u32_u24_dpp v67, v16, v54 row_newbcast:13 row_mask:0xf bank_mask:0xf// 00000002DEA4: 10866CFA FF015D10
	v_add_u32_e32 v30, v64, v6                                 // 00000002DEAC: 683C0D40
	v_add_u32_e32 v31, v65, v6                                 // 00000002DEB0: 683E0D41
	v_add_u32_e32 v32, v66, v6                                 // 00000002DEB4: 68400D42
	v_add_u32_e32 v33, v67, v6                                 // 00000002DEB8: 68420D43
	v_mul_f32_e32 v208, v49, v208                              // 00000002DEBC: 0BA1A131
	v_mul_f32_e32 v209, v49, v209                              // 00000002DEC0: 0BA3A331
	v_mul_f32_e32 v210, v49, v210                              // 00000002DEC4: 0BA5A531
	v_mul_f32_e32 v211, v49, v211                              // 00000002DEC8: 0BA7A731
	v_mul_f32_e32 v212, v49, v212                              // 00000002DECC: 0BA9A931
	v_mul_f32_e32 v213, v49, v213                              // 00000002DED0: 0BABAB31
	v_mul_f32_e32 v214, v49, v214                              // 00000002DED4: 0BADAD31
	v_mul_f32_e32 v215, v49, v215                              // 00000002DED8: 0BAFAF31
	s_waitcnt lgkmcnt(0)                                       // 00000002DEDC: BF8CC07F
	s_barrier                                                  // 00000002DEE0: BF8A0000
	ds_read_b32 v64, v7 offset:16896                           // 00000002DEE4: D86C4200 40000007
	ds_read_b32 v65, v7 offset:16960                           // 00000002DEEC: D86C4240 41000007
	ds_read_b32 v66, v7 offset:17024                           // 00000002DEF4: D86C4280 42000007
	ds_read_b32 v67, v7 offset:17088                           // 00000002DEFC: D86C42C0 43000007
	ds_read_b32 v68, v7 offset:17152                           // 00000002DF04: D86C4300 44000007
	ds_read_b32 v69, v7 offset:17216                           // 00000002DF0C: D86C4340 45000007
	ds_read_b32 v70, v7 offset:17280                           // 00000002DF14: D86C4380 46000007
	ds_read_b32 v71, v7 offset:17344                           // 00000002DF1C: D86C43C0 47000007
	ds_read_b32 v72, v7 offset:17408                           // 00000002DF24: D86C4400 48000007
	ds_read_b32 v73, v7 offset:17472                           // 00000002DF2C: D86C4440 49000007
	ds_read_b32 v74, v7 offset:17536                           // 00000002DF34: D86C4480 4A000007
	ds_read_b32 v75, v7 offset:17600                           // 00000002DF3C: D86C44C0 4B000007
	ds_read_b32 v76, v7 offset:17664                           // 00000002DF44: D86C4500 4C000007
	ds_read_b32 v77, v7 offset:17728                           // 00000002DF4C: D86C4540 4D000007
	ds_read_b32 v78, v7 offset:17792                           // 00000002DF54: D86C4580 4E000007
	ds_read_b32 v79, v7 offset:17856                           // 00000002DF5C: D86C45C0 4F000007
	v_cvt_f32_i32_e32 v176, v176                               // 00000002DF64: 7F600BB0
	v_cvt_f32_i32_e32 v177, v177                               // 00000002DF68: 7F620BB1
	v_cvt_f32_i32_e32 v178, v178                               // 00000002DF6C: 7F640BB2
	v_cvt_f32_i32_e32 v179, v179                               // 00000002DF70: 7F660BB3
	v_cvt_f32_i32_e32 v180, v180                               // 00000002DF74: 7F680BB4
	v_cvt_f32_i32_e32 v181, v181                               // 00000002DF78: 7F6A0BB5
	v_cvt_f32_i32_e32 v182, v182                               // 00000002DF7C: 7F6C0BB6
	v_cvt_f32_i32_e32 v183, v183                               // 00000002DF80: 7F6E0BB7
	v_mul_f32_e32 v176, v44, v176                              // 00000002DF84: 0B61612C
	v_mul_f32_e32 v177, v44, v177                              // 00000002DF88: 0B63632C
	v_mul_f32_e32 v178, v44, v178                              // 00000002DF8C: 0B65652C
	v_mul_f32_e32 v179, v44, v179                              // 00000002DF90: 0B67672C
	v_mul_f32_e32 v180, v44, v180                              // 00000002DF94: 0B69692C
	v_mul_f32_e32 v181, v44, v181                              // 00000002DF98: 0B6B6B2C
	v_mul_f32_e32 v182, v44, v182                              // 00000002DF9C: 0B6D6D2C
	v_mul_f32_e32 v183, v44, v183                              // 00000002DFA0: 0B6F6F2C
	s_waitcnt lgkmcnt(0)                                       // 00000002DFA4: BF8CC07F
	v_max3_f32 v48, v64, v65, v48                              // 00000002DFA8: D1D30030 04C28340
	v_max3_f32 v48, v66, v67, v48                              // 00000002DFB0: D1D30030 04C28742
	v_max3_f32 v48, v68, v69, v48                              // 00000002DFB8: D1D30030 04C28B44
	v_max3_f32 v48, v70, v71, v48                              // 00000002DFC0: D1D30030 04C28F46
	v_max3_f32 v48, v72, v73, v48                              // 00000002DFC8: D1D30030 04C29348
	v_max3_f32 v48, v74, v75, v48                              // 00000002DFD0: D1D30030 04C2974A
	v_max3_f32 v48, v76, v77, v48                              // 00000002DFD8: D1D30030 04C29B4C
	v_max3_f32 v48, v78, v79, v48                              // 00000002DFE0: D1D30030 04C29F4E
	v_mov_b32_e32 v64, 0xff800000                              // 00000002DFE8: 7E8002FF FF800000
	v_cmp_eq_u32_e64 s[40:41], v64, v11                        // 00000002DFF0: D0CA0028 00021740
	s_nop 1                                                    // 00000002DFF8: BF800001
	v_max_f32_e32 v15, v48, v11                                // 00000002DFFC: 161E1730
	v_mul_f32_e32 v53, s64, v15                                // 00000002E000: 0A6A1E40
	v_fma_f32 v112, v112, s64, -v53                            // 00000002E004: D1CB0070 84D48170
	v_fma_f32 v113, v113, s64, -v53                            // 00000002E00C: D1CB0071 84D48171
	v_fma_f32 v114, v114, s64, -v53                            // 00000002E014: D1CB0072 84D48172
	v_fma_f32 v115, v115, s64, -v53                            // 00000002E01C: D1CB0073 84D48173
	v_fma_f32 v116, v116, s64, -v53                            // 00000002E024: D1CB0074 84D48174
	v_fma_f32 v117, v117, s64, -v53                            // 00000002E02C: D1CB0075 84D48175
	v_fma_f32 v118, v118, s64, -v53                            // 00000002E034: D1CB0076 84D48176
	v_fma_f32 v119, v119, s64, -v53                            // 00000002E03C: D1CB0077 84D48177
	v_fma_f32 v120, v120, s64, -v53                            // 00000002E044: D1CB0078 84D48178
	v_fma_f32 v121, v121, s64, -v53                            // 00000002E04C: D1CB0079 84D48179
	v_fma_f32 v122, v122, s64, -v53                            // 00000002E054: D1CB007A 84D4817A
	v_fma_f32 v123, v123, s64, -v53                            // 00000002E05C: D1CB007B 84D4817B
	v_fma_f32 v124, v124, s64, -v53                            // 00000002E064: D1CB007C 84D4817C
	v_fma_f32 v125, v125, s64, -v53                            // 00000002E06C: D1CB007D 84D4817D
	v_fma_f32 v126, v126, s64, -v53                            // 00000002E074: D1CB007E 84D4817E
	v_fma_f32 v127, v127, s64, -v53                            // 00000002E07C: D1CB007F 84D4817F
	v_exp_f32_e32 v112, v112                                   // 00000002E084: 7EE04170
	v_exp_f32_e32 v113, v113                                   // 00000002E088: 7EE24171
	v_exp_f32_e32 v114, v114                                   // 00000002E08C: 7EE44172
	v_exp_f32_e32 v115, v115                                   // 00000002E090: 7EE64173
	v_exp_f32_e32 v116, v116                                   // 00000002E094: 7EE84174
	v_exp_f32_e32 v117, v117                                   // 00000002E098: 7EEA4175
	v_exp_f32_e32 v118, v118                                   // 00000002E09C: 7EEC4176
	v_exp_f32_e32 v119, v119                                   // 00000002E0A0: 7EEE4177
	v_exp_f32_e32 v120, v120                                   // 00000002E0A4: 7EF04178
	v_exp_f32_e32 v121, v121                                   // 00000002E0A8: 7EF24179
	v_exp_f32_e32 v122, v122                                   // 00000002E0AC: 7EF4417A
	v_exp_f32_e32 v123, v123                                   // 00000002E0B0: 7EF6417B
	v_exp_f32_e32 v124, v124                                   // 00000002E0B4: 7EF8417C
	v_exp_f32_e32 v125, v125                                   // 00000002E0B8: 7EFA417D
	v_exp_f32_e32 v126, v126                                   // 00000002E0BC: 7EFC417E
	v_exp_f32_e32 v127, v127                                   // 00000002E0C0: 7EFE417F
	v_mul_f32_dpp v240, v252, v112 quad_perm:[0,0,0,0] row_mask:0xf bank_mask:0xf// 00000002E0C4: 0BE0E0FA FF0000FC
	v_mul_f32_dpp v241, v252, v113 quad_perm:[1,1,1,1] row_mask:0xf bank_mask:0xf// 00000002E0CC: 0BE2E2FA FF0055FC
	v_mul_f32_dpp v242, v252, v114 quad_perm:[2,2,2,2] row_mask:0xf bank_mask:0xf// 00000002E0D4: 0BE4E4FA FF00AAFC
	v_mul_f32_dpp v243, v252, v115 quad_perm:[3,3,3,3] row_mask:0xf bank_mask:0xf// 00000002E0DC: 0BE6E6FA FF00FFFC
	v_mul_f32_dpp v244, v253, v116 quad_perm:[0,0,0,0] row_mask:0xf bank_mask:0xf// 00000002E0E4: 0BE8E8FA FF0000FD
	v_mul_f32_dpp v245, v253, v117 quad_perm:[1,1,1,1] row_mask:0xf bank_mask:0xf// 00000002E0EC: 0BEAEAFA FF0055FD
	v_mul_f32_dpp v246, v253, v118 quad_perm:[2,2,2,2] row_mask:0xf bank_mask:0xf// 00000002E0F4: 0BECECFA FF00AAFD
	v_mul_f32_dpp v247, v253, v119 quad_perm:[3,3,3,3] row_mask:0xf bank_mask:0xf// 00000002E0FC: 0BEEEEFA FF00FFFD
	v_mul_f32_dpp v248, v254, v120 quad_perm:[0,0,0,0] row_mask:0xf bank_mask:0xf// 00000002E104: 0BF0F0FA FF0000FE
	v_mul_f32_dpp v249, v254, v121 quad_perm:[1,1,1,1] row_mask:0xf bank_mask:0xf// 00000002E10C: 0BF2F2FA FF0055FE
	v_mul_f32_dpp v250, v254, v122 quad_perm:[2,2,2,2] row_mask:0xf bank_mask:0xf// 00000002E114: 0BF4F4FA FF00AAFE
	v_mul_f32_dpp v251, v254, v123 quad_perm:[3,3,3,3] row_mask:0xf bank_mask:0xf// 00000002E11C: 0BF6F6FA FF00FFFE
	v_mul_f32_dpp v252, v255, v124 quad_perm:[0,0,0,0] row_mask:0xf bank_mask:0xf// 00000002E124: 0BF8F8FA FF0000FF
	v_mul_f32_dpp v253, v255, v125 quad_perm:[1,1,1,1] row_mask:0xf bank_mask:0xf// 00000002E12C: 0BFAFAFA FF0055FF
	v_mul_f32_dpp v254, v255, v126 quad_perm:[2,2,2,2] row_mask:0xf bank_mask:0xf// 00000002E134: 0BFCFCFA FF00AAFF
	v_mul_f32_dpp v255, v255, v127 quad_perm:[3,3,3,3] row_mask:0xf bank_mask:0xf// 00000002E13C: 0BFEFEFA FF00FFFF
	v_mov_b32_e32 v48, 0x358637bd                              // 00000002E144: 7E6002FF 358637BD
	v_max3_f32 v48, |v240|, |v241|, v48                        // 00000002E14C: D1D30330 04C3E3F0
	v_max3_f32 v48, |v242|, |v243|, v48                        // 00000002E154: D1D30330 04C3E7F2
	v_max3_f32 v48, |v244|, |v245|, v48                        // 00000002E15C: D1D30330 04C3EBF4
	v_max3_f32 v48, |v246|, |v247|, v48                        // 00000002E164: D1D30330 04C3EFF6
	v_max3_f32 v48, |v248|, |v249|, v48                        // 00000002E16C: D1D30330 04C3F3F8
	v_max3_f32 v48, |v250|, |v251|, v48                        // 00000002E174: D1D30330 04C3F7FA
	v_max3_f32 v48, |v252|, |v253|, v48                        // 00000002E17C: D1D30330 04C3FBFC
	v_max3_f32 v48, |v254|, |v255|, v48                        // 00000002E184: D1D30330 04C3FFFE
	ds_write_b32 v8, v48 offset:20992                          // 00000002E18C: D81A5200 00003008
	v_sub_f32_e32 v49, v11, v15                                // 00000002E194: 04621F0B
	v_cndmask_b32_e64 v49, v49, 0, s[40:41]                    // 00000002E198: D1000031 00A10131
	v_mov_b32_e32 v11, v15                                     // 00000002E1A0: 7E16030F
	v_mul_f32_e32 v49, s64, v49                                // 00000002E1A4: 0A626240
	v_exp_f32_e32 v49, v49                                     // 00000002E1A8: 7E624131
	s_waitcnt lgkmcnt(0)                                       // 00000002E1AC: BF8CC07F
	s_barrier                                                  // 00000002E1B0: BF8A0000
	ds_read_b32 v64, v7 offset:20992                           // 00000002E1B4: D86C5200 40000007
	ds_read_b32 v65, v7 offset:21056                           // 00000002E1BC: D86C5240 41000007
	ds_read_b32 v66, v7 offset:21120                           // 00000002E1C4: D86C5280 42000007
	ds_read_b32 v67, v7 offset:21184                           // 00000002E1CC: D86C52C0 43000007
	ds_read_b32 v68, v7 offset:21248                           // 00000002E1D4: D86C5300 44000007
	ds_read_b32 v69, v7 offset:21312                           // 00000002E1DC: D86C5340 45000007
	ds_read_b32 v70, v7 offset:21376                           // 00000002E1E4: D86C5380 46000007
	ds_read_b32 v71, v7 offset:21440                           // 00000002E1EC: D86C53C0 47000007
	ds_read_b32 v72, v7 offset:21504                           // 00000002E1F4: D86C5400 48000007
	ds_read_b32 v73, v7 offset:21568                           // 00000002E1FC: D86C5440 49000007
	ds_read_b32 v74, v7 offset:21632                           // 00000002E204: D86C5480 4A000007
	ds_read_b32 v75, v7 offset:21696                           // 00000002E20C: D86C54C0 4B000007
	ds_read_b32 v76, v7 offset:21760                           // 00000002E214: D86C5500 4C000007
	ds_read_b32 v77, v7 offset:21824                           // 00000002E21C: D86C5540 4D000007
	ds_read_b32 v78, v7 offset:21888                           // 00000002E224: D86C5580 4E000007
	ds_read_b32 v79, v7 offset:21952                           // 00000002E22C: D86C55C0 4F000007
	v_mul_f32_e32 v38, v49, v38                                // 00000002E234: 0A4C4D31
	v_mov_b32_e32 v15, v112                                    // 00000002E238: 7E1E0370
	v_add_f32_e32 v15, v113, v15                               // 00000002E23C: 021E1F71
	v_add_f32_e32 v15, v114, v15                               // 00000002E240: 021E1F72
	v_add_f32_e32 v15, v115, v15                               // 00000002E244: 021E1F73
	v_add_f32_e32 v15, v116, v15                               // 00000002E248: 021E1F74
	v_add_f32_e32 v15, v117, v15                               // 00000002E24C: 021E1F75
	v_add_f32_e32 v15, v118, v15                               // 00000002E250: 021E1F76
	v_add_f32_e32 v15, v119, v15                               // 00000002E254: 021E1F77
	v_add_f32_e32 v15, v120, v15                               // 00000002E258: 021E1F78
	v_add_f32_e32 v15, v121, v15                               // 00000002E25C: 021E1F79
	v_add_f32_e32 v15, v122, v15                               // 00000002E260: 021E1F7A
	v_add_f32_e32 v15, v123, v15                               // 00000002E264: 021E1F7B
	v_add_f32_e32 v15, v124, v15                               // 00000002E268: 021E1F7C
	v_add_f32_e32 v15, v125, v15                               // 00000002E26C: 021E1F7D
	v_add_f32_e32 v15, v126, v15                               // 00000002E270: 021E1F7E
	v_add_f32_e32 v15, v127, v15                               // 00000002E274: 021E1F7F
	v_add_f32_e32 v38, v15, v38                                // 00000002E278: 024C4D0F
	s_waitcnt lgkmcnt(0)                                       // 00000002E27C: BF8CC07F
	v_max3_f32 v48, |v64|, |v65|, v48                          // 00000002E280: D1D30330 04C28340
	v_max3_f32 v48, |v66|, |v67|, v48                          // 00000002E288: D1D30330 04C28742
	v_max3_f32 v48, |v68|, |v69|, v48                          // 00000002E290: D1D30330 04C28B44
	v_max3_f32 v48, |v70|, |v71|, v48                          // 00000002E298: D1D30330 04C28F46
	v_max3_f32 v48, |v72|, |v73|, v48                          // 00000002E2A0: D1D30330 04C29348
	v_max3_f32 v48, |v74|, |v75|, v48                          // 00000002E2A8: D1D30330 04C2974A
	v_max3_f32 v48, |v76|, |v77|, v48                          // 00000002E2B0: D1D30330 04C29B4C
	v_max3_f32 v48, |v78|, |v79|, v48                          // 00000002E2B8: D1D30330 04C29F4E
	s_nop 2                                                    // 00000002E2C0: BF800002
	v_rcp_f32_e32 v48, v48                                     // 00000002E2C4: 7E604530
	s_nop 1                                                    // 00000002E2C8: BF800001
	v_mul_f32_e32 v48, 0x42fe0000, v48                         // 00000002E2CC: 0A6060FF 42FE0000
	v_mul_f32_e32 v112, v48, v240                              // 00000002E2D4: 0AE1E130
	v_mul_f32_e32 v113, v48, v241                              // 00000002E2D8: 0AE3E330
	v_mul_f32_e32 v114, v48, v242                              // 00000002E2DC: 0AE5E530
	v_mul_f32_e32 v115, v48, v243                              // 00000002E2E0: 0AE7E730
	v_mul_f32_e32 v116, v48, v244                              // 00000002E2E4: 0AE9E930
	v_mul_f32_e32 v117, v48, v245                              // 00000002E2E8: 0AEBEB30
	v_mul_f32_e32 v118, v48, v246                              // 00000002E2EC: 0AEDED30
	v_mul_f32_e32 v119, v48, v247                              // 00000002E2F0: 0AEFEF30
	v_mul_f32_e32 v120, v48, v248                              // 00000002E2F4: 0AF1F130
	v_mul_f32_e32 v121, v48, v249                              // 00000002E2F8: 0AF3F330
	v_mul_f32_e32 v122, v48, v250                              // 00000002E2FC: 0AF5F530
	v_mul_f32_e32 v123, v48, v251                              // 00000002E300: 0AF7F730
	v_mul_f32_e32 v124, v48, v252                              // 00000002E304: 0AF9F930
	v_mul_f32_e32 v125, v48, v253                              // 00000002E308: 0AFBFB30
	v_mul_f32_e32 v126, v48, v254                              // 00000002E30C: 0AFDFD30
	v_mul_f32_e32 v127, v48, v255                              // 00000002E310: 0AFFFF30
	v_cvt_i32_f32_e32 v112, v112                               // 00000002E314: 7EE01170
	v_cvt_i32_f32_e32 v113, v113                               // 00000002E318: 7EE21171
	v_cvt_i32_f32_e32 v114, v114                               // 00000002E31C: 7EE41172
	v_cvt_i32_f32_e32 v115, v115                               // 00000002E320: 7EE61173
	v_cvt_i32_f32_e32 v116, v116                               // 00000002E324: 7EE81174
	v_cvt_i32_f32_e32 v117, v117                               // 00000002E328: 7EEA1175
	v_cvt_i32_f32_e32 v118, v118                               // 00000002E32C: 7EEC1176
	v_cvt_i32_f32_e32 v119, v119                               // 00000002E330: 7EEE1177
	v_cvt_i32_f32_e32 v120, v120                               // 00000002E334: 7EF01178
	v_cvt_i32_f32_e32 v121, v121                               // 00000002E338: 7EF21179
	v_cvt_i32_f32_e32 v122, v122                               // 00000002E33C: 7EF4117A
	v_cvt_i32_f32_e32 v123, v123                               // 00000002E340: 7EF6117B
	v_cvt_i32_f32_e32 v124, v124                               // 00000002E344: 7EF8117C
	v_cvt_i32_f32_e32 v125, v125                               // 00000002E348: 7EFA117D
	v_cvt_i32_f32_e32 v126, v126                               // 00000002E34C: 7EFC117E
	v_cvt_i32_f32_e32 v127, v127                               // 00000002E350: 7EFE117F
	v_perm_b32 v112, v113, v112, s53                           // 00000002E354: D1ED0070 00D6E171
	v_perm_b32 v112, v114, v112, s54                           // 00000002E35C: D1ED0070 00DAE172
	v_perm_b32 v112, v115, v112, s55                           // 00000002E364: D1ED0070 00DEE173
	v_perm_b32 v113, v117, v116, s53                           // 00000002E36C: D1ED0071 00D6E975
	v_perm_b32 v113, v118, v113, s54                           // 00000002E374: D1ED0071 00DAE376
	v_perm_b32 v113, v119, v113, s55                           // 00000002E37C: D1ED0071 00DEE377
	v_perm_b32 v114, v121, v120, s53                           // 00000002E384: D1ED0072 00D6F179
	v_perm_b32 v114, v122, v114, s54                           // 00000002E38C: D1ED0072 00DAE57A
	v_perm_b32 v114, v123, v114, s55                           // 00000002E394: D1ED0072 00DEE57B
	v_perm_b32 v115, v125, v124, s53                           // 00000002E39C: D1ED0073 00D6F97D
	v_perm_b32 v115, v126, v115, s54                           // 00000002E3A4: D1ED0073 00DAE77E
	v_perm_b32 v115, v127, v115, s55                           // 00000002E3AC: D1ED0073 00DEE77F
	ds_write_b32 v10, v112 offset:25088                        // 00000002E3B4: D81A6200 0000700A
	ds_write_b32 v10, v113 offset:26112                        // 00000002E3BC: D81A6600 0000710A
	ds_write_b32 v10, v114 offset:27136                        // 00000002E3C4: D81A6A00 0000720A
	ds_write_b32 v10, v115 offset:28160                        // 00000002E3CC: D81A6E00 0000730A
	v_add_f32_e32 v208, v208, v176                             // 00000002E3D4: 03A161D0
	v_add_f32_e32 v209, v209, v177                             // 00000002E3D8: 03A363D1
	v_add_f32_e32 v210, v210, v178                             // 00000002E3DC: 03A565D2
	v_add_f32_e32 v211, v211, v179                             // 00000002E3E0: 03A767D3
	v_add_f32_e32 v212, v212, v180                             // 00000002E3E4: 03A969D4
	v_add_f32_e32 v213, v213, v181                             // 00000002E3E8: 03AB6BD5
	v_add_f32_e32 v214, v214, v182                             // 00000002E3EC: 03AD6DD6
	v_add_f32_e32 v215, v215, v183                             // 00000002E3F0: 03AF6FD7
	v_rcp_f32_e32 v44, v48                                     // 00000002E3F4: 7E584530
	s_waitcnt lgkmcnt(0)                                       // 00000002E3F8: BF8CC07F
	s_barrier                                                  // 00000002E3FC: BF8A0000
	ds_read_b64 v[112:113], v9 offset:25088                    // 00000002E400: D8EC6200 70000009
	ds_read_b64 v[114:115], v9 offset:25216                    // 00000002E408: D8EC6280 72000009
	ds_read_b64 v[116:117], v9 offset:26112                    // 00000002E410: D8EC6600 74000009
	ds_read_b64 v[118:119], v9 offset:26240                    // 00000002E418: D8EC6680 76000009
	ds_read_b64 v[120:121], v9 offset:27136                    // 00000002E420: D8EC6A00 78000009
	ds_read_b64 v[122:123], v9 offset:27264                    // 00000002E428: D8EC6A80 7A000009
	ds_read_b64 v[124:125], v9 offset:28160                    // 00000002E430: D8EC6E00 7C000009
	ds_read_b64 v[126:127], v9 offset:28288                    // 00000002E438: D8EC6E80 7E000009
	v_mov_b32_dpp v64, v43 row_shr:4 row_mask:0xf bank_mask:0xf// 00000002E440: 7E8002FA FF01142B
	v_mov_b32_dpp v65, v43 row_shl:4 row_mask:0xf bank_mask:0xf// 00000002E448: 7E8202FA FF01042B
	v_cndmask_b32_e64 v248, v43, v64, s[44:45]                 // 00000002E450: D10000F8 00B2812B
	v_cndmask_b32_e64 v249, v65, v43, s[44:45]                 // 00000002E458: D10000F9 00B25741
	v_mov_b32_dpp v64, v248 row_shr:8 row_mask:0xf bank_mask:0xf// 00000002E460: 7E8002FA FF0118F8
	v_mov_b32_dpp v65, v248 row_shl:8 row_mask:0xf bank_mask:0xf// 00000002E468: 7E8202FA FF0108F8
	v_mov_b32_dpp v66, v249 row_shr:8 row_mask:0xf bank_mask:0xf// 00000002E470: 7E8402FA FF0118F9
	v_mov_b32_dpp v67, v249 row_shl:8 row_mask:0xf bank_mask:0xf// 00000002E478: 7E8602FA FF0108F9
	v_mov_b32_e32 v68, v248                                    // 00000002E480: 7E8803F8
	v_mov_b32_e32 v69, v249                                    // 00000002E484: 7E8A03F9
	v_cndmask_b32_e64 v248, v68, v64, s[42:43]                 // 00000002E488: D10000F8 00AA8144
	v_cndmask_b32_e64 v250, v68, v65, s[78:79]                 // 00000002E490: D10000FA 013A8344
	v_cndmask_b32_e64 v249, v69, v66, s[42:43]                 // 00000002E498: D10000F9 00AA8545
	v_cndmask_b32_e64 v251, v69, v67, s[78:79]                 // 00000002E4A0: D10000FB 013A8745
	v_mov_b32_dpp v64, v58 row_shr:4 row_mask:0xf bank_mask:0xf// 00000002E4A8: 7E8002FA FF01143A
	v_mov_b32_dpp v65, v58 row_shl:4 row_mask:0xf bank_mask:0xf// 00000002E4B0: 7E8202FA FF01043A
	v_cndmask_b32_e64 v252, v58, v64, s[44:45]                 // 00000002E4B8: D10000FC 00B2813A
	v_cndmask_b32_e64 v253, v65, v58, s[44:45]                 // 00000002E4C0: D10000FD 00B27541
	v_mov_b32_dpp v64, v252 row_shr:8 row_mask:0xf bank_mask:0xf// 00000002E4C8: 7E8002FA FF0118FC
	v_mov_b32_dpp v65, v252 row_shl:8 row_mask:0xf bank_mask:0xf// 00000002E4D0: 7E8202FA FF0108FC
	v_mov_b32_dpp v66, v253 row_shr:8 row_mask:0xf bank_mask:0xf// 00000002E4D8: 7E8402FA FF0118FD
	v_mov_b32_dpp v67, v253 row_shl:8 row_mask:0xf bank_mask:0xf// 00000002E4E0: 7E8602FA FF0108FD
	v_mov_b32_e32 v68, v252                                    // 00000002E4E8: 7E8803FC
	v_mov_b32_e32 v69, v253                                    // 00000002E4EC: 7E8A03FD
	v_cndmask_b32_e64 v252, v68, v64, s[42:43]                 // 00000002E4F0: D10000FC 00AA8144
	v_cndmask_b32_e64 v254, v68, v65, s[78:79]                 // 00000002E4F8: D10000FE 013A8344
	v_cndmask_b32_e64 v253, v69, v66, s[42:43]                 // 00000002E500: D10000FD 00AA8545
	v_cndmask_b32_e64 v255, v69, v67, s[78:79]                 // 00000002E508: D10000FF 013A8745
	v_cvt_f32_i32_e32 v128, v128                               // 00000002E510: 7F000B80
	v_cvt_f32_i32_e32 v129, v129                               // 00000002E514: 7F020B81
	v_cvt_f32_i32_e32 v130, v130                               // 00000002E518: 7F040B82
	v_cvt_f32_i32_e32 v131, v131                               // 00000002E51C: 7F060B83
	v_cvt_f32_i32_e32 v132, v132                               // 00000002E520: 7F080B84
	v_cvt_f32_i32_e32 v133, v133                               // 00000002E524: 7F0A0B85
	v_cvt_f32_i32_e32 v134, v134                               // 00000002E528: 7F0C0B86
	v_cvt_f32_i32_e32 v135, v135                               // 00000002E52C: 7F0E0B87
	v_cvt_f32_i32_e32 v136, v136                               // 00000002E530: 7F100B88
	v_cvt_f32_i32_e32 v137, v137                               // 00000002E534: 7F120B89
	v_cvt_f32_i32_e32 v138, v138                               // 00000002E538: 7F140B8A
	v_cvt_f32_i32_e32 v139, v139                               // 00000002E53C: 7F160B8B
	v_cvt_f32_i32_e32 v140, v140                               // 00000002E540: 7F180B8C
	v_cvt_f32_i32_e32 v141, v141                               // 00000002E544: 7F1A0B8D
	v_cvt_f32_i32_e32 v142, v142                               // 00000002E548: 7F1C0B8E
	v_cvt_f32_i32_e32 v143, v143                               // 00000002E54C: 7F1E0B8F
	v_mul_f32_e32 v128, v19, v128                              // 00000002E550: 0B010113
	v_mul_f32_e32 v129, v19, v129                              // 00000002E554: 0B030313
	v_mul_f32_e32 v130, v19, v130                              // 00000002E558: 0B050513
	v_mul_f32_e32 v131, v19, v131                              // 00000002E55C: 0B070713
	v_mul_f32_e32 v132, v19, v132                              // 00000002E560: 0B090913
	v_mul_f32_e32 v133, v19, v133                              // 00000002E564: 0B0B0B13
	v_mul_f32_e32 v134, v19, v134                              // 00000002E568: 0B0D0D13
	v_mul_f32_e32 v135, v19, v135                              // 00000002E56C: 0B0F0F13
	v_mul_f32_e32 v136, v19, v136                              // 00000002E570: 0B111113
	v_mul_f32_e32 v137, v19, v137                              // 00000002E574: 0B131313
	v_mul_f32_e32 v138, v19, v138                              // 00000002E578: 0B151513
	v_mul_f32_e32 v139, v19, v139                              // 00000002E57C: 0B171713
	v_mul_f32_e32 v140, v19, v140                              // 00000002E580: 0B191913
	v_mul_f32_e32 v141, v19, v141                              // 00000002E584: 0B1B1B13
	v_mul_f32_e32 v142, v19, v142                              // 00000002E588: 0B1D1D13
	v_mul_f32_e32 v143, v19, v143                              // 00000002E58C: 0B1F1F13
	v_mul_f32_dpp v128, v248, v128 quad_perm:[0,0,0,0] row_mask:0xf bank_mask:0xf// 00000002E590: 0B0100FA FF0000F8
	v_mul_f32_dpp v129, v248, v129 quad_perm:[1,1,1,1] row_mask:0xf bank_mask:0xf// 00000002E598: 0B0302FA FF0055F8
	v_mul_f32_dpp v130, v248, v130 quad_perm:[2,2,2,2] row_mask:0xf bank_mask:0xf// 00000002E5A0: 0B0504FA FF00AAF8
	v_mul_f32_dpp v131, v248, v131 quad_perm:[3,3,3,3] row_mask:0xf bank_mask:0xf// 00000002E5A8: 0B0706FA FF00FFF8
	v_mul_f32_dpp v132, v249, v132 quad_perm:[0,0,0,0] row_mask:0xf bank_mask:0xf// 00000002E5B0: 0B0908FA FF0000F9
	v_mul_f32_dpp v133, v249, v133 quad_perm:[1,1,1,1] row_mask:0xf bank_mask:0xf// 00000002E5B8: 0B0B0AFA FF0055F9
	v_mul_f32_dpp v134, v249, v134 quad_perm:[2,2,2,2] row_mask:0xf bank_mask:0xf// 00000002E5C0: 0B0D0CFA FF00AAF9
	v_mul_f32_dpp v135, v249, v135 quad_perm:[3,3,3,3] row_mask:0xf bank_mask:0xf// 00000002E5C8: 0B0F0EFA FF00FFF9
	v_mul_f32_dpp v136, v250, v136 quad_perm:[0,0,0,0] row_mask:0xf bank_mask:0xf// 00000002E5D0: 0B1110FA FF0000FA
	v_mul_f32_dpp v137, v250, v137 quad_perm:[1,1,1,1] row_mask:0xf bank_mask:0xf// 00000002E5D8: 0B1312FA FF0055FA
	v_mul_f32_dpp v138, v250, v138 quad_perm:[2,2,2,2] row_mask:0xf bank_mask:0xf// 00000002E5E0: 0B1514FA FF00AAFA
	v_mul_f32_dpp v139, v250, v139 quad_perm:[3,3,3,3] row_mask:0xf bank_mask:0xf// 00000002E5E8: 0B1716FA FF00FFFA
	v_mul_f32_dpp v140, v251, v140 quad_perm:[0,0,0,0] row_mask:0xf bank_mask:0xf// 00000002E5F0: 0B1918FA FF0000FB
	v_mul_f32_dpp v141, v251, v141 quad_perm:[1,1,1,1] row_mask:0xf bank_mask:0xf// 00000002E5F8: 0B1B1AFA FF0055FB
	v_mul_f32_dpp v142, v251, v142 quad_perm:[2,2,2,2] row_mask:0xf bank_mask:0xf// 00000002E600: 0B1D1CFA FF00AAFB
	v_mul_f32_dpp v143, v251, v143 quad_perm:[3,3,3,3] row_mask:0xf bank_mask:0xf// 00000002E608: 0B1F1EFA FF00FFFB
	s_cmp_le_i32 s90, s89                                      // 00000002E610: BF05595A
	s_cbranch_scc1 label_B177                                  // 00000002E614: BF850071
	v_mov_b32_e32 v66, 0xff800000                              // 00000002E618: 7E8402FF FF800000
	s_mov_b32 s60, s90                                         // 00000002E620: BEBC005A
	s_add_u32 s61, s89, 0xff                                   // 00000002E624: 803DFF59 000000FF
	v_mov_b32_e32 v64, s61                                     // 00000002E62C: 7E80023D
	v_lshrrev_b32_e32 v240, 4, v0                              // 00000002E630: 21E00084
	v_mul_i32_i24_e32 v240, 4, v240                            // 00000002E634: 0DE1E084
	v_add_u32_e32 v240, s60, v240                              // 00000002E638: 69E1E03C
	s_mov_b32 s61, 1                                           // 00000002E63C: BEBD0081
	s_mul_i32 s60, 16, s7                                      // 00000002E640: 923C0790
	v_sub_u32_e64 v240, v240, s61                              // 00000002E644: D13500F0 00007BF0
	v_add_u32_e32 v240, s60, v240                              // 00000002E64C: 69E1E03C
	v_add_u32_e32 v241, 1, v240                                // 00000002E650: 69E3E081
	v_add_u32_e32 v242, 2, v240                                // 00000002E654: 69E5E082
	v_add_u32_e32 v243, 3, v240                                // 00000002E658: 69E7E083
	v_cmp_le_u32_e64 s[40:41], v240, v64                       // 00000002E65C: D0CB0028 000281F0
	v_add_u32_e32 v240, 64, v240                               // 00000002E664: 69E1E0C0
	s_nop 0                                                    // 00000002E668: BF800000
	v_cndmask_b32_e64 v128, v66, v128, s[40:41]                // 00000002E66C: D1000080 00A30142
	v_cmp_le_u32_e64 s[40:41], v241, v64                       // 00000002E674: D0CB0028 000281F1
	v_add_u32_e32 v241, 64, v241                               // 00000002E67C: 69E3E2C0
	s_nop 0                                                    // 00000002E680: BF800000
	v_cndmask_b32_e64 v129, v66, v129, s[40:41]                // 00000002E684: D1000081 00A30342
	v_cmp_le_u32_e64 s[40:41], v242, v64                       // 00000002E68C: D0CB0028 000281F2
	v_add_u32_e32 v242, 64, v242                               // 00000002E694: 69E5E4C0
	s_nop 0                                                    // 00000002E698: BF800000
	v_cndmask_b32_e64 v130, v66, v130, s[40:41]                // 00000002E69C: D1000082 00A30542
	v_cmp_le_u32_e64 s[40:41], v243, v64                       // 00000002E6A4: D0CB0028 000281F3
	v_add_u32_e32 v243, 64, v243                               // 00000002E6AC: 69E7E6C0
	s_nop 0                                                    // 00000002E6B0: BF800000
	v_cndmask_b32_e64 v131, v66, v131, s[40:41]                // 00000002E6B4: D1000083 00A30742
	v_cmp_le_u32_e64 s[40:41], v240, v64                       // 00000002E6BC: D0CB0028 000281F0
	v_add_u32_e32 v240, 64, v240                               // 00000002E6C4: 69E1E0C0
	s_nop 0                                                    // 00000002E6C8: BF800000
	v_cndmask_b32_e64 v132, v66, v132, s[40:41]                // 00000002E6CC: D1000084 00A30942
	v_cmp_le_u32_e64 s[40:41], v241, v64                       // 00000002E6D4: D0CB0028 000281F1
	v_add_u32_e32 v241, 64, v241                               // 00000002E6DC: 69E3E2C0
	s_nop 0                                                    // 00000002E6E0: BF800000
	v_cndmask_b32_e64 v133, v66, v133, s[40:41]                // 00000002E6E4: D1000085 00A30B42
	v_cmp_le_u32_e64 s[40:41], v242, v64                       // 00000002E6EC: D0CB0028 000281F2
	v_add_u32_e32 v242, 64, v242                               // 00000002E6F4: 69E5E4C0
	s_nop 0                                                    // 00000002E6F8: BF800000
	v_cndmask_b32_e64 v134, v66, v134, s[40:41]                // 00000002E6FC: D1000086 00A30D42
	v_cmp_le_u32_e64 s[40:41], v243, v64                       // 00000002E704: D0CB0028 000281F3
	v_add_u32_e32 v243, 64, v243                               // 00000002E70C: 69E7E6C0
	s_nop 0                                                    // 00000002E710: BF800000
	v_cndmask_b32_e64 v135, v66, v135, s[40:41]                // 00000002E714: D1000087 00A30F42
	v_cmp_le_u32_e64 s[40:41], v240, v64                       // 00000002E71C: D0CB0028 000281F0
	v_add_u32_e32 v240, 64, v240                               // 00000002E724: 69E1E0C0
	s_nop 0                                                    // 00000002E728: BF800000
	v_cndmask_b32_e64 v136, v66, v136, s[40:41]                // 00000002E72C: D1000088 00A31142
	v_cmp_le_u32_e64 s[40:41], v241, v64                       // 00000002E734: D0CB0028 000281F1
	v_add_u32_e32 v241, 64, v241                               // 00000002E73C: 69E3E2C0
	s_nop 0                                                    // 00000002E740: BF800000
	v_cndmask_b32_e64 v137, v66, v137, s[40:41]                // 00000002E744: D1000089 00A31342
	v_cmp_le_u32_e64 s[40:41], v242, v64                       // 00000002E74C: D0CB0028 000281F2
	v_add_u32_e32 v242, 64, v242                               // 00000002E754: 69E5E4C0
	s_nop 0                                                    // 00000002E758: BF800000
	v_cndmask_b32_e64 v138, v66, v138, s[40:41]                // 00000002E75C: D100008A 00A31542
	v_cmp_le_u32_e64 s[40:41], v243, v64                       // 00000002E764: D0CB0028 000281F3
	v_add_u32_e32 v243, 64, v243                               // 00000002E76C: 69E7E6C0
	s_nop 0                                                    // 00000002E770: BF800000
	v_cndmask_b32_e64 v139, v66, v139, s[40:41]                // 00000002E774: D100008B 00A31742
	v_cmp_le_u32_e64 s[40:41], v240, v64                       // 00000002E77C: D0CB0028 000281F0
	v_add_u32_e32 v240, 64, v240                               // 00000002E784: 69E1E0C0
	s_nop 0                                                    // 00000002E788: BF800000
	v_cndmask_b32_e64 v140, v66, v140, s[40:41]                // 00000002E78C: D100008C 00A31942
	v_cmp_le_u32_e64 s[40:41], v241, v64                       // 00000002E794: D0CB0028 000281F1
	v_add_u32_e32 v241, 64, v241                               // 00000002E79C: 69E3E2C0
	s_nop 0                                                    // 00000002E7A0: BF800000
	v_cndmask_b32_e64 v141, v66, v141, s[40:41]                // 00000002E7A4: D100008D 00A31B42
	v_cmp_le_u32_e64 s[40:41], v242, v64                       // 00000002E7AC: D0CB0028 000281F2
	v_add_u32_e32 v242, 64, v242                               // 00000002E7B4: 69E5E4C0
	s_nop 0                                                    // 00000002E7B8: BF800000
	v_cndmask_b32_e64 v142, v66, v142, s[40:41]                // 00000002E7BC: D100008E 00A31D42
	v_cmp_le_u32_e64 s[40:41], v243, v64                       // 00000002E7C4: D0CB0028 000281F3
	v_add_u32_e32 v243, 64, v243                               // 00000002E7CC: 69E7E6C0
	s_nop 0                                                    // 00000002E7D0: BF800000
	v_cndmask_b32_e64 v143, v66, v143, s[40:41]                // 00000002E7D4: D100008F 00A31F42

000000000002e7dc <label_B177>:
	s_and_b32 s60, s72, 0xff                                   // 00000002E7DC: 863CFF48 000000FF
	v_mov_b32_e32 v65, s60                                     // 00000002E7E4: 7E82023C
	v_lshrrev_b32_e32 v240, 4, v0                              // 00000002E7E8: 21E00084
	v_mul_i32_i24_e32 v240, 4, v240                            // 00000002E7EC: 0DE1E084
	s_mul_i32 s60, s7, 16                                      // 00000002E7F0: 923C9007
	v_add_u32_e32 v240, s60, v240                              // 00000002E7F4: 69E1E03C
	v_add_u32_e32 v241, 1, v240                                // 00000002E7F8: 69E3E081
	v_add_u32_e32 v242, 2, v240                                // 00000002E7FC: 69E5E082
	v_add_u32_e32 v243, 3, v240                                // 00000002E800: 69E7E083
	v_mov_b32_e32 v64, 0xff800000                              // 00000002E804: 7E8002FF FF800000
	v_cmp_lt_u32_e64 s[40:41], v240, v65                       // 00000002E80C: D0C90028 000283F0
	v_add_u32_e32 v240, 64, v240                               // 00000002E814: 69E1E0C0
	s_nop 0                                                    // 00000002E818: BF800000
	v_cndmask_b32_e64 v128, v64, v128, s[40:41]                // 00000002E81C: D1000080 00A30140
	v_cmp_lt_u32_e64 s[40:41], v241, v65                       // 00000002E824: D0C90028 000283F1
	v_add_u32_e32 v241, 64, v241                               // 00000002E82C: 69E3E2C0
	s_nop 0                                                    // 00000002E830: BF800000
	v_cndmask_b32_e64 v129, v64, v129, s[40:41]                // 00000002E834: D1000081 00A30340
	v_cmp_lt_u32_e64 s[40:41], v242, v65                       // 00000002E83C: D0C90028 000283F2
	v_add_u32_e32 v242, 64, v242                               // 00000002E844: 69E5E4C0
	s_nop 0                                                    // 00000002E848: BF800000
	v_cndmask_b32_e64 v130, v64, v130, s[40:41]                // 00000002E84C: D1000082 00A30540
	v_cmp_lt_u32_e64 s[40:41], v243, v65                       // 00000002E854: D0C90028 000283F3
	v_add_u32_e32 v243, 64, v243                               // 00000002E85C: 69E7E6C0
	s_nop 0                                                    // 00000002E860: BF800000
	v_cndmask_b32_e64 v131, v64, v131, s[40:41]                // 00000002E864: D1000083 00A30740
	v_cmp_lt_u32_e64 s[40:41], v240, v65                       // 00000002E86C: D0C90028 000283F0
	v_add_u32_e32 v240, 64, v240                               // 00000002E874: 69E1E0C0
	s_nop 0                                                    // 00000002E878: BF800000
	v_cndmask_b32_e64 v132, v64, v132, s[40:41]                // 00000002E87C: D1000084 00A30940
	v_cmp_lt_u32_e64 s[40:41], v241, v65                       // 00000002E884: D0C90028 000283F1
	v_add_u32_e32 v241, 64, v241                               // 00000002E88C: 69E3E2C0
	s_nop 0                                                    // 00000002E890: BF800000
	v_cndmask_b32_e64 v133, v64, v133, s[40:41]                // 00000002E894: D1000085 00A30B40
	v_cmp_lt_u32_e64 s[40:41], v242, v65                       // 00000002E89C: D0C90028 000283F2
	v_add_u32_e32 v242, 64, v242                               // 00000002E8A4: 69E5E4C0
	s_nop 0                                                    // 00000002E8A8: BF800000
	v_cndmask_b32_e64 v134, v64, v134, s[40:41]                // 00000002E8AC: D1000086 00A30D40
	v_cmp_lt_u32_e64 s[40:41], v243, v65                       // 00000002E8B4: D0C90028 000283F3
	v_add_u32_e32 v243, 64, v243                               // 00000002E8BC: 69E7E6C0
	s_nop 0                                                    // 00000002E8C0: BF800000
	v_cndmask_b32_e64 v135, v64, v135, s[40:41]                // 00000002E8C4: D1000087 00A30F40
	v_cmp_lt_u32_e64 s[40:41], v240, v65                       // 00000002E8CC: D0C90028 000283F0
	v_add_u32_e32 v240, 64, v240                               // 00000002E8D4: 69E1E0C0
	s_nop 0                                                    // 00000002E8D8: BF800000
	v_cndmask_b32_e64 v136, v64, v136, s[40:41]                // 00000002E8DC: D1000088 00A31140
	v_cmp_lt_u32_e64 s[40:41], v241, v65                       // 00000002E8E4: D0C90028 000283F1
	v_add_u32_e32 v241, 64, v241                               // 00000002E8EC: 69E3E2C0
	s_nop 0                                                    // 00000002E8F0: BF800000
	v_cndmask_b32_e64 v137, v64, v137, s[40:41]                // 00000002E8F4: D1000089 00A31340
	v_cmp_lt_u32_e64 s[40:41], v242, v65                       // 00000002E8FC: D0C90028 000283F2
	v_add_u32_e32 v242, 64, v242                               // 00000002E904: 69E5E4C0
	s_nop 0                                                    // 00000002E908: BF800000
	v_cndmask_b32_e64 v138, v64, v138, s[40:41]                // 00000002E90C: D100008A 00A31540
	v_cmp_lt_u32_e64 s[40:41], v243, v65                       // 00000002E914: D0C90028 000283F3
	v_add_u32_e32 v243, 64, v243                               // 00000002E91C: 69E7E6C0
	s_nop 0                                                    // 00000002E920: BF800000
	v_cndmask_b32_e64 v139, v64, v139, s[40:41]                // 00000002E924: D100008B 00A31740
	v_cmp_lt_u32_e64 s[40:41], v240, v65                       // 00000002E92C: D0C90028 000283F0
	v_add_u32_e32 v240, 64, v240                               // 00000002E934: 69E1E0C0
	s_nop 0                                                    // 00000002E938: BF800000
	v_cndmask_b32_e64 v140, v64, v140, s[40:41]                // 00000002E93C: D100008C 00A31940
	v_cmp_lt_u32_e64 s[40:41], v241, v65                       // 00000002E944: D0C90028 000283F1
	v_add_u32_e32 v241, 64, v241                               // 00000002E94C: 69E3E2C0
	s_nop 0                                                    // 00000002E950: BF800000
	v_cndmask_b32_e64 v141, v64, v141, s[40:41]                // 00000002E954: D100008D 00A31B40
	v_cmp_lt_u32_e64 s[40:41], v242, v65                       // 00000002E95C: D0C90028 000283F2
	v_add_u32_e32 v242, 64, v242                               // 00000002E964: 69E5E4C0
	s_nop 0                                                    // 00000002E968: BF800000
	v_cndmask_b32_e64 v142, v64, v142, s[40:41]                // 00000002E96C: D100008E 00A31D40
	v_cmp_lt_u32_e64 s[40:41], v243, v65                       // 00000002E974: D0C90028 000283F3
	v_add_u32_e32 v243, 64, v243                               // 00000002E97C: 69E7E6C0
	s_nop 0                                                    // 00000002E980: BF800000
	v_cndmask_b32_e64 v143, v64, v143, s[40:41]                // 00000002E984: D100008F 00A31F40
	v_mov_b32_e32 v48, v128                                    // 00000002E98C: 7E600380
	v_max3_f32 v48, v128, v129, v48                            // 00000002E990: D1D30030 04C30380
	v_max3_f32 v48, v130, v131, v48                            // 00000002E998: D1D30030 04C30782
	v_max3_f32 v48, v132, v133, v48                            // 00000002E9A0: D1D30030 04C30B84
	v_max3_f32 v48, v134, v135, v48                            // 00000002E9A8: D1D30030 04C30F86
	v_max3_f32 v48, v136, v137, v48                            // 00000002E9B0: D1D30030 04C31388
	v_max3_f32 v48, v138, v139, v48                            // 00000002E9B8: D1D30030 04C3178A
	v_max3_f32 v48, v140, v141, v48                            // 00000002E9C0: D1D30030 04C31B8C
	v_max3_f32 v48, v142, v143, v48                            // 00000002E9C8: D1D30030 04C31F8E
	ds_write_b32 v8, v48 offset:16896                          // 00000002E9D0: D81A4200 00003008
	v_mul_f32_e32 v216, v50, v216                              // 00000002E9D8: 0BB1B132
	v_mul_f32_e32 v217, v50, v217                              // 00000002E9DC: 0BB3B332
	v_mul_f32_e32 v218, v50, v218                              // 00000002E9E0: 0BB5B532
	v_mul_f32_e32 v219, v50, v219                              // 00000002E9E4: 0BB7B732
	v_mul_f32_e32 v220, v50, v220                              // 00000002E9E8: 0BB9B932
	v_mul_f32_e32 v221, v50, v221                              // 00000002E9EC: 0BBBBB32
	v_mul_f32_e32 v222, v50, v222                              // 00000002E9F0: 0BBDBD32
	v_mul_f32_e32 v223, v50, v223                              // 00000002E9F4: 0BBFBF32
	s_waitcnt lgkmcnt(0)                                       // 00000002E9F8: BF8CC07F
	s_barrier                                                  // 00000002E9FC: BF8A0000
	ds_read_b32 v64, v7 offset:16896                           // 00000002EA00: D86C4200 40000007
	ds_read_b32 v65, v7 offset:16960                           // 00000002EA08: D86C4240 41000007
	ds_read_b32 v66, v7 offset:17024                           // 00000002EA10: D86C4280 42000007
	ds_read_b32 v67, v7 offset:17088                           // 00000002EA18: D86C42C0 43000007
	ds_read_b32 v68, v7 offset:17152                           // 00000002EA20: D86C4300 44000007
	ds_read_b32 v69, v7 offset:17216                           // 00000002EA28: D86C4340 45000007
	ds_read_b32 v70, v7 offset:17280                           // 00000002EA30: D86C4380 46000007
	ds_read_b32 v71, v7 offset:17344                           // 00000002EA38: D86C43C0 47000007
	ds_read_b32 v72, v7 offset:17408                           // 00000002EA40: D86C4400 48000007
	ds_read_b32 v73, v7 offset:17472                           // 00000002EA48: D86C4440 49000007
	ds_read_b32 v74, v7 offset:17536                           // 00000002EA50: D86C4480 4A000007
	ds_read_b32 v75, v7 offset:17600                           // 00000002EA58: D86C44C0 4B000007
	ds_read_b32 v76, v7 offset:17664                           // 00000002EA60: D86C4500 4C000007
	ds_read_b32 v77, v7 offset:17728                           // 00000002EA68: D86C4540 4D000007
	ds_read_b32 v78, v7 offset:17792                           // 00000002EA70: D86C4580 4E000007
	ds_read_b32 v79, v7 offset:17856                           // 00000002EA78: D86C45C0 4F000007
	v_cvt_f32_i32_e32 v184, v184                               // 00000002EA80: 7F700BB8
	v_cvt_f32_i32_e32 v185, v185                               // 00000002EA84: 7F720BB9
	v_cvt_f32_i32_e32 v186, v186                               // 00000002EA88: 7F740BBA
	v_cvt_f32_i32_e32 v187, v187                               // 00000002EA8C: 7F760BBB
	v_cvt_f32_i32_e32 v188, v188                               // 00000002EA90: 7F780BBC
	v_cvt_f32_i32_e32 v189, v189                               // 00000002EA94: 7F7A0BBD
	v_cvt_f32_i32_e32 v190, v190                               // 00000002EA98: 7F7C0BBE
	v_cvt_f32_i32_e32 v191, v191                               // 00000002EA9C: 7F7E0BBF
	v_mul_f32_e32 v184, v45, v184                              // 00000002EAA0: 0B71712D
	v_mul_f32_e32 v185, v45, v185                              // 00000002EAA4: 0B73732D
	v_mul_f32_e32 v186, v45, v186                              // 00000002EAA8: 0B75752D
	v_mul_f32_e32 v187, v45, v187                              // 00000002EAAC: 0B77772D
	v_mul_f32_e32 v188, v45, v188                              // 00000002EAB0: 0B79792D
	v_mul_f32_e32 v189, v45, v189                              // 00000002EAB4: 0B7B7B2D
	v_mul_f32_e32 v190, v45, v190                              // 00000002EAB8: 0B7D7D2D
	v_mul_f32_e32 v191, v45, v191                              // 00000002EABC: 0B7F7F2D
	s_waitcnt lgkmcnt(0)                                       // 00000002EAC0: BF8CC07F
	v_max3_f32 v48, v64, v65, v48                              // 00000002EAC4: D1D30030 04C28340
	v_max3_f32 v48, v66, v67, v48                              // 00000002EACC: D1D30030 04C28742
	v_max3_f32 v48, v68, v69, v48                              // 00000002EAD4: D1D30030 04C28B44
	v_max3_f32 v48, v70, v71, v48                              // 00000002EADC: D1D30030 04C28F46
	v_max3_f32 v48, v72, v73, v48                              // 00000002EAE4: D1D30030 04C29348
	v_max3_f32 v48, v74, v75, v48                              // 00000002EAEC: D1D30030 04C2974A
	v_max3_f32 v48, v76, v77, v48                              // 00000002EAF4: D1D30030 04C29B4C
	v_max3_f32 v48, v78, v79, v48                              // 00000002EAFC: D1D30030 04C29F4E
	v_mov_b32_e32 v64, 0xff800000                              // 00000002EB04: 7E8002FF FF800000
	v_cmp_eq_u32_e64 s[40:41], v64, v12                        // 00000002EB0C: D0CA0028 00021940
	s_nop 1                                                    // 00000002EB14: BF800001
	v_max_f32_e32 v15, v48, v12                                // 00000002EB18: 161E1930
	v_mul_f32_e32 v53, s64, v15                                // 00000002EB1C: 0A6A1E40
	v_fma_f32 v128, v128, s64, -v53                            // 00000002EB20: D1CB0080 84D48180
	v_fma_f32 v129, v129, s64, -v53                            // 00000002EB28: D1CB0081 84D48181
	v_fma_f32 v130, v130, s64, -v53                            // 00000002EB30: D1CB0082 84D48182
	v_fma_f32 v131, v131, s64, -v53                            // 00000002EB38: D1CB0083 84D48183
	v_fma_f32 v132, v132, s64, -v53                            // 00000002EB40: D1CB0084 84D48184
	v_fma_f32 v133, v133, s64, -v53                            // 00000002EB48: D1CB0085 84D48185
	v_fma_f32 v134, v134, s64, -v53                            // 00000002EB50: D1CB0086 84D48186
	v_fma_f32 v135, v135, s64, -v53                            // 00000002EB58: D1CB0087 84D48187
	v_fma_f32 v136, v136, s64, -v53                            // 00000002EB60: D1CB0088 84D48188
	v_fma_f32 v137, v137, s64, -v53                            // 00000002EB68: D1CB0089 84D48189
	v_fma_f32 v138, v138, s64, -v53                            // 00000002EB70: D1CB008A 84D4818A
	v_fma_f32 v139, v139, s64, -v53                            // 00000002EB78: D1CB008B 84D4818B
	v_fma_f32 v140, v140, s64, -v53                            // 00000002EB80: D1CB008C 84D4818C
	v_fma_f32 v141, v141, s64, -v53                            // 00000002EB88: D1CB008D 84D4818D
	v_fma_f32 v142, v142, s64, -v53                            // 00000002EB90: D1CB008E 84D4818E
	v_fma_f32 v143, v143, s64, -v53                            // 00000002EB98: D1CB008F 84D4818F
	v_exp_f32_e32 v128, v128                                   // 00000002EBA0: 7F004180
	v_exp_f32_e32 v129, v129                                   // 00000002EBA4: 7F024181
	v_exp_f32_e32 v130, v130                                   // 00000002EBA8: 7F044182
	v_exp_f32_e32 v131, v131                                   // 00000002EBAC: 7F064183
	v_exp_f32_e32 v132, v132                                   // 00000002EBB0: 7F084184
	v_exp_f32_e32 v133, v133                                   // 00000002EBB4: 7F0A4185
	v_exp_f32_e32 v134, v134                                   // 00000002EBB8: 7F0C4186
	v_exp_f32_e32 v135, v135                                   // 00000002EBBC: 7F0E4187
	v_exp_f32_e32 v136, v136                                   // 00000002EBC0: 7F104188
	v_exp_f32_e32 v137, v137                                   // 00000002EBC4: 7F124189
	v_exp_f32_e32 v138, v138                                   // 00000002EBC8: 7F14418A
	v_exp_f32_e32 v139, v139                                   // 00000002EBCC: 7F16418B
	v_exp_f32_e32 v140, v140                                   // 00000002EBD0: 7F18418C
	v_exp_f32_e32 v141, v141                                   // 00000002EBD4: 7F1A418D
	v_exp_f32_e32 v142, v142                                   // 00000002EBD8: 7F1C418E
	v_exp_f32_e32 v143, v143                                   // 00000002EBDC: 7F1E418F
	v_mul_f32_dpp v240, v252, v128 quad_perm:[0,0,0,0] row_mask:0xf bank_mask:0xf// 00000002EBE0: 0BE100FA FF0000FC
	v_mul_f32_dpp v241, v252, v129 quad_perm:[1,1,1,1] row_mask:0xf bank_mask:0xf// 00000002EBE8: 0BE302FA FF0055FC
	v_mul_f32_dpp v242, v252, v130 quad_perm:[2,2,2,2] row_mask:0xf bank_mask:0xf// 00000002EBF0: 0BE504FA FF00AAFC
	v_mul_f32_dpp v243, v252, v131 quad_perm:[3,3,3,3] row_mask:0xf bank_mask:0xf// 00000002EBF8: 0BE706FA FF00FFFC
	v_mul_f32_dpp v244, v253, v132 quad_perm:[0,0,0,0] row_mask:0xf bank_mask:0xf// 00000002EC00: 0BE908FA FF0000FD
	v_mul_f32_dpp v245, v253, v133 quad_perm:[1,1,1,1] row_mask:0xf bank_mask:0xf// 00000002EC08: 0BEB0AFA FF0055FD
	v_mul_f32_dpp v246, v253, v134 quad_perm:[2,2,2,2] row_mask:0xf bank_mask:0xf// 00000002EC10: 0BED0CFA FF00AAFD
	v_mul_f32_dpp v247, v253, v135 quad_perm:[3,3,3,3] row_mask:0xf bank_mask:0xf// 00000002EC18: 0BEF0EFA FF00FFFD
	v_mul_f32_dpp v248, v254, v136 quad_perm:[0,0,0,0] row_mask:0xf bank_mask:0xf// 00000002EC20: 0BF110FA FF0000FE
	v_mul_f32_dpp v249, v254, v137 quad_perm:[1,1,1,1] row_mask:0xf bank_mask:0xf// 00000002EC28: 0BF312FA FF0055FE
	v_mul_f32_dpp v250, v254, v138 quad_perm:[2,2,2,2] row_mask:0xf bank_mask:0xf// 00000002EC30: 0BF514FA FF00AAFE
	v_mul_f32_dpp v251, v254, v139 quad_perm:[3,3,3,3] row_mask:0xf bank_mask:0xf// 00000002EC38: 0BF716FA FF00FFFE
	v_mul_f32_dpp v252, v255, v140 quad_perm:[0,0,0,0] row_mask:0xf bank_mask:0xf// 00000002EC40: 0BF918FA FF0000FF
	v_mul_f32_dpp v253, v255, v141 quad_perm:[1,1,1,1] row_mask:0xf bank_mask:0xf// 00000002EC48: 0BFB1AFA FF0055FF
	v_mul_f32_dpp v254, v255, v142 quad_perm:[2,2,2,2] row_mask:0xf bank_mask:0xf// 00000002EC50: 0BFD1CFA FF00AAFF
	v_mul_f32_dpp v255, v255, v143 quad_perm:[3,3,3,3] row_mask:0xf bank_mask:0xf// 00000002EC58: 0BFF1EFA FF00FFFF
	v_mov_b32_e32 v48, 0x358637bd                              // 00000002EC60: 7E6002FF 358637BD
	v_max3_f32 v48, |v240|, |v241|, v48                        // 00000002EC68: D1D30330 04C3E3F0
	v_max3_f32 v48, |v242|, |v243|, v48                        // 00000002EC70: D1D30330 04C3E7F2
	v_max3_f32 v48, |v244|, |v245|, v48                        // 00000002EC78: D1D30330 04C3EBF4
	v_max3_f32 v48, |v246|, |v247|, v48                        // 00000002EC80: D1D30330 04C3EFF6
	v_max3_f32 v48, |v248|, |v249|, v48                        // 00000002EC88: D1D30330 04C3F3F8
	v_max3_f32 v48, |v250|, |v251|, v48                        // 00000002EC90: D1D30330 04C3F7FA
	v_max3_f32 v48, |v252|, |v253|, v48                        // 00000002EC98: D1D30330 04C3FBFC
	v_max3_f32 v48, |v254|, |v255|, v48                        // 00000002ECA0: D1D30330 04C3FFFE
	ds_write_b32 v8, v48 offset:20992                          // 00000002ECA8: D81A5200 00003008
	v_sub_f32_e32 v50, v12, v15                                // 00000002ECB0: 04641F0C
	v_cndmask_b32_e64 v50, v50, 0, s[40:41]                    // 00000002ECB4: D1000032 00A10132
	v_mov_b32_e32 v12, v15                                     // 00000002ECBC: 7E18030F
	v_mul_f32_e32 v50, s64, v50                                // 00000002ECC0: 0A646440
	v_exp_f32_e32 v50, v50                                     // 00000002ECC4: 7E644132
	s_waitcnt lgkmcnt(0)                                       // 00000002ECC8: BF8CC07F
	s_barrier                                                  // 00000002ECCC: BF8A0000
	ds_read_b32 v64, v7 offset:20992                           // 00000002ECD0: D86C5200 40000007
	ds_read_b32 v65, v7 offset:21056                           // 00000002ECD8: D86C5240 41000007
	ds_read_b32 v66, v7 offset:21120                           // 00000002ECE0: D86C5280 42000007
	ds_read_b32 v67, v7 offset:21184                           // 00000002ECE8: D86C52C0 43000007
	ds_read_b32 v68, v7 offset:21248                           // 00000002ECF0: D86C5300 44000007
	ds_read_b32 v69, v7 offset:21312                           // 00000002ECF8: D86C5340 45000007
	ds_read_b32 v70, v7 offset:21376                           // 00000002ED00: D86C5380 46000007
	ds_read_b32 v71, v7 offset:21440                           // 00000002ED08: D86C53C0 47000007
	ds_read_b32 v72, v7 offset:21504                           // 00000002ED10: D86C5400 48000007
	ds_read_b32 v73, v7 offset:21568                           // 00000002ED18: D86C5440 49000007
	ds_read_b32 v74, v7 offset:21632                           // 00000002ED20: D86C5480 4A000007
	ds_read_b32 v75, v7 offset:21696                           // 00000002ED28: D86C54C0 4B000007
	ds_read_b32 v76, v7 offset:21760                           // 00000002ED30: D86C5500 4C000007
	ds_read_b32 v77, v7 offset:21824                           // 00000002ED38: D86C5540 4D000007
	ds_read_b32 v78, v7 offset:21888                           // 00000002ED40: D86C5580 4E000007
	ds_read_b32 v79, v7 offset:21952                           // 00000002ED48: D86C55C0 4F000007
	v_mul_f32_e32 v39, v50, v39                                // 00000002ED50: 0A4E4F32
	v_mov_b32_e32 v15, v128                                    // 00000002ED54: 7E1E0380
	v_add_f32_e32 v15, v129, v15                               // 00000002ED58: 021E1F81
	v_add_f32_e32 v15, v130, v15                               // 00000002ED5C: 021E1F82
	v_add_f32_e32 v15, v131, v15                               // 00000002ED60: 021E1F83
	v_add_f32_e32 v15, v132, v15                               // 00000002ED64: 021E1F84
	v_add_f32_e32 v15, v133, v15                               // 00000002ED68: 021E1F85
	v_add_f32_e32 v15, v134, v15                               // 00000002ED6C: 021E1F86
	v_add_f32_e32 v15, v135, v15                               // 00000002ED70: 021E1F87
	v_add_f32_e32 v15, v136, v15                               // 00000002ED74: 021E1F88
	v_add_f32_e32 v15, v137, v15                               // 00000002ED78: 021E1F89
	v_add_f32_e32 v15, v138, v15                               // 00000002ED7C: 021E1F8A
	v_add_f32_e32 v15, v139, v15                               // 00000002ED80: 021E1F8B
	v_add_f32_e32 v15, v140, v15                               // 00000002ED84: 021E1F8C
	v_add_f32_e32 v15, v141, v15                               // 00000002ED88: 021E1F8D
	v_add_f32_e32 v15, v142, v15                               // 00000002ED8C: 021E1F8E
	v_add_f32_e32 v15, v143, v15                               // 00000002ED90: 021E1F8F
	v_add_f32_e32 v39, v15, v39                                // 00000002ED94: 024E4F0F
	s_waitcnt lgkmcnt(0)                                       // 00000002ED98: BF8CC07F
	v_max3_f32 v48, |v64|, |v65|, v48                          // 00000002ED9C: D1D30330 04C28340
	v_max3_f32 v48, |v66|, |v67|, v48                          // 00000002EDA4: D1D30330 04C28742
	v_max3_f32 v48, |v68|, |v69|, v48                          // 00000002EDAC: D1D30330 04C28B44
	v_max3_f32 v48, |v70|, |v71|, v48                          // 00000002EDB4: D1D30330 04C28F46
	v_max3_f32 v48, |v72|, |v73|, v48                          // 00000002EDBC: D1D30330 04C29348
	v_max3_f32 v48, |v74|, |v75|, v48                          // 00000002EDC4: D1D30330 04C2974A
	v_max3_f32 v48, |v76|, |v77|, v48                          // 00000002EDCC: D1D30330 04C29B4C
	v_max3_f32 v48, |v78|, |v79|, v48                          // 00000002EDD4: D1D30330 04C29F4E
	s_nop 2                                                    // 00000002EDDC: BF800002
	v_rcp_f32_e32 v48, v48                                     // 00000002EDE0: 7E604530
	s_nop 1                                                    // 00000002EDE4: BF800001
	v_mul_f32_e32 v48, 0x42fe0000, v48                         // 00000002EDE8: 0A6060FF 42FE0000
	v_mul_f32_e32 v128, v48, v240                              // 00000002EDF0: 0B01E130
	v_mul_f32_e32 v129, v48, v241                              // 00000002EDF4: 0B03E330
	v_mul_f32_e32 v130, v48, v242                              // 00000002EDF8: 0B05E530
	v_mul_f32_e32 v131, v48, v243                              // 00000002EDFC: 0B07E730
	v_mul_f32_e32 v132, v48, v244                              // 00000002EE00: 0B09E930
	v_mul_f32_e32 v133, v48, v245                              // 00000002EE04: 0B0BEB30
	v_mul_f32_e32 v134, v48, v246                              // 00000002EE08: 0B0DED30
	v_mul_f32_e32 v135, v48, v247                              // 00000002EE0C: 0B0FEF30
	v_mul_f32_e32 v136, v48, v248                              // 00000002EE10: 0B11F130
	v_mul_f32_e32 v137, v48, v249                              // 00000002EE14: 0B13F330
	v_mul_f32_e32 v138, v48, v250                              // 00000002EE18: 0B15F530
	v_mul_f32_e32 v139, v48, v251                              // 00000002EE1C: 0B17F730
	v_mul_f32_e32 v140, v48, v252                              // 00000002EE20: 0B19F930
	v_mul_f32_e32 v141, v48, v253                              // 00000002EE24: 0B1BFB30
	v_mul_f32_e32 v142, v48, v254                              // 00000002EE28: 0B1DFD30
	v_mul_f32_e32 v143, v48, v255                              // 00000002EE2C: 0B1FFF30
	v_cvt_i32_f32_e32 v128, v128                               // 00000002EE30: 7F001180
	v_cvt_i32_f32_e32 v129, v129                               // 00000002EE34: 7F021181
	v_cvt_i32_f32_e32 v130, v130                               // 00000002EE38: 7F041182
	v_cvt_i32_f32_e32 v131, v131                               // 00000002EE3C: 7F061183
	v_cvt_i32_f32_e32 v132, v132                               // 00000002EE40: 7F081184
	v_cvt_i32_f32_e32 v133, v133                               // 00000002EE44: 7F0A1185
	v_cvt_i32_f32_e32 v134, v134                               // 00000002EE48: 7F0C1186
	v_cvt_i32_f32_e32 v135, v135                               // 00000002EE4C: 7F0E1187
	v_cvt_i32_f32_e32 v136, v136                               // 00000002EE50: 7F101188
	v_cvt_i32_f32_e32 v137, v137                               // 00000002EE54: 7F121189
	v_cvt_i32_f32_e32 v138, v138                               // 00000002EE58: 7F14118A
	v_cvt_i32_f32_e32 v139, v139                               // 00000002EE5C: 7F16118B
	v_cvt_i32_f32_e32 v140, v140                               // 00000002EE60: 7F18118C
	v_cvt_i32_f32_e32 v141, v141                               // 00000002EE64: 7F1A118D
	v_cvt_i32_f32_e32 v142, v142                               // 00000002EE68: 7F1C118E
	v_cvt_i32_f32_e32 v143, v143                               // 00000002EE6C: 7F1E118F
	v_perm_b32 v128, v129, v128, s53                           // 00000002EE70: D1ED0080 00D70181
	v_perm_b32 v128, v130, v128, s54                           // 00000002EE78: D1ED0080 00DB0182
	v_perm_b32 v128, v131, v128, s55                           // 00000002EE80: D1ED0080 00DF0183
	v_perm_b32 v129, v133, v132, s53                           // 00000002EE88: D1ED0081 00D70985
	v_perm_b32 v129, v134, v129, s54                           // 00000002EE90: D1ED0081 00DB0386
	v_perm_b32 v129, v135, v129, s55                           // 00000002EE98: D1ED0081 00DF0387
	v_perm_b32 v130, v137, v136, s53                           // 00000002EEA0: D1ED0082 00D71189
	v_perm_b32 v130, v138, v130, s54                           // 00000002EEA8: D1ED0082 00DB058A
	v_perm_b32 v130, v139, v130, s55                           // 00000002EEB0: D1ED0082 00DF058B
	v_perm_b32 v131, v141, v140, s53                           // 00000002EEB8: D1ED0083 00D7198D
	v_perm_b32 v131, v142, v131, s54                           // 00000002EEC0: D1ED0083 00DB078E
	v_perm_b32 v131, v143, v131, s55                           // 00000002EEC8: D1ED0083 00DF078F
	ds_write_b32 v10, v128 offset:29184                        // 00000002EED0: D81A7200 0000800A
	ds_write_b32 v10, v129 offset:30208                        // 00000002EED8: D81A7600 0000810A
	ds_write_b32 v10, v130 offset:31232                        // 00000002EEE0: D81A7A00 0000820A
	ds_write_b32 v10, v131 offset:32256                        // 00000002EEE8: D81A7E00 0000830A
	v_add_f32_e32 v216, v216, v184                             // 00000002EEF0: 03B171D8
	v_add_f32_e32 v217, v217, v185                             // 00000002EEF4: 03B373D9
	v_add_f32_e32 v218, v218, v186                             // 00000002EEF8: 03B575DA
	v_add_f32_e32 v219, v219, v187                             // 00000002EEFC: 03B777DB
	v_add_f32_e32 v220, v220, v188                             // 00000002EF00: 03B979DC
	v_add_f32_e32 v221, v221, v189                             // 00000002EF04: 03BB7BDD
	v_add_f32_e32 v222, v222, v190                             // 00000002EF08: 03BD7DDE
	v_add_f32_e32 v223, v223, v191                             // 00000002EF0C: 03BF7FDF
	v_rcp_f32_e32 v45, v48                                     // 00000002EF10: 7E5A4530
	s_waitcnt lgkmcnt(0)                                       // 00000002EF14: BF8CC07F
	s_barrier                                                  // 00000002EF18: BF8A0000
	ds_read_b64 v[128:129], v9 offset:29184                    // 00000002EF1C: D8EC7200 80000009
	ds_read_b64 v[130:131], v9 offset:29312                    // 00000002EF24: D8EC7280 82000009
	ds_read_b64 v[132:133], v9 offset:30208                    // 00000002EF2C: D8EC7600 84000009
	ds_read_b64 v[134:135], v9 offset:30336                    // 00000002EF34: D8EC7680 86000009
	ds_read_b64 v[136:137], v9 offset:31232                    // 00000002EF3C: D8EC7A00 88000009
	ds_read_b64 v[138:139], v9 offset:31360                    // 00000002EF44: D8EC7A80 8A000009
	ds_read_b64 v[140:141], v9 offset:32256                    // 00000002EF4C: D8EC7E00 8C000009
	ds_read_b64 v[142:143], v9 offset:32384                    // 00000002EF54: D8EC7E80 8E000009
	v_mov_b32_dpp v64, v43 row_shr:4 row_mask:0xf bank_mask:0xf// 00000002EF5C: 7E8002FA FF01142B
	v_mov_b32_dpp v65, v43 row_shl:4 row_mask:0xf bank_mask:0xf// 00000002EF64: 7E8202FA FF01042B
	v_cndmask_b32_e64 v248, v43, v64, s[44:45]                 // 00000002EF6C: D10000F8 00B2812B
	v_cndmask_b32_e64 v249, v65, v43, s[44:45]                 // 00000002EF74: D10000F9 00B25741
	v_mov_b32_dpp v64, v248 row_shr:8 row_mask:0xf bank_mask:0xf// 00000002EF7C: 7E8002FA FF0118F8
	v_mov_b32_dpp v65, v248 row_shl:8 row_mask:0xf bank_mask:0xf// 00000002EF84: 7E8202FA FF0108F8
	v_mov_b32_dpp v66, v249 row_shr:8 row_mask:0xf bank_mask:0xf// 00000002EF8C: 7E8402FA FF0118F9
	v_mov_b32_dpp v67, v249 row_shl:8 row_mask:0xf bank_mask:0xf// 00000002EF94: 7E8602FA FF0108F9
	v_mov_b32_e32 v68, v248                                    // 00000002EF9C: 7E8803F8
	v_mov_b32_e32 v69, v249                                    // 00000002EFA0: 7E8A03F9
	v_cndmask_b32_e64 v248, v68, v64, s[42:43]                 // 00000002EFA4: D10000F8 00AA8144
	v_cndmask_b32_e64 v250, v68, v65, s[78:79]                 // 00000002EFAC: D10000FA 013A8344
	v_cndmask_b32_e64 v249, v69, v66, s[42:43]                 // 00000002EFB4: D10000F9 00AA8545
	v_cndmask_b32_e64 v251, v69, v67, s[78:79]                 // 00000002EFBC: D10000FB 013A8745
	v_mov_b32_dpp v64, v58 row_shr:4 row_mask:0xf bank_mask:0xf// 00000002EFC4: 7E8002FA FF01143A
	v_mov_b32_dpp v65, v58 row_shl:4 row_mask:0xf bank_mask:0xf// 00000002EFCC: 7E8202FA FF01043A
	v_cndmask_b32_e64 v252, v58, v64, s[44:45]                 // 00000002EFD4: D10000FC 00B2813A
	v_cndmask_b32_e64 v253, v65, v58, s[44:45]                 // 00000002EFDC: D10000FD 00B27541
	v_mov_b32_dpp v64, v252 row_shr:8 row_mask:0xf bank_mask:0xf// 00000002EFE4: 7E8002FA FF0118FC
	v_mov_b32_dpp v65, v252 row_shl:8 row_mask:0xf bank_mask:0xf// 00000002EFEC: 7E8202FA FF0108FC
	v_mov_b32_dpp v66, v253 row_shr:8 row_mask:0xf bank_mask:0xf// 00000002EFF4: 7E8402FA FF0118FD
	v_mov_b32_dpp v67, v253 row_shl:8 row_mask:0xf bank_mask:0xf// 00000002EFFC: 7E8602FA FF0108FD
	v_mov_b32_e32 v68, v252                                    // 00000002F004: 7E8803FC
	v_mov_b32_e32 v69, v253                                    // 00000002F008: 7E8A03FD
	v_cndmask_b32_e64 v252, v68, v64, s[42:43]                 // 00000002F00C: D10000FC 00AA8144
	v_cndmask_b32_e64 v254, v68, v65, s[78:79]                 // 00000002F014: D10000FE 013A8344
	v_cndmask_b32_e64 v253, v69, v66, s[42:43]                 // 00000002F01C: D10000FD 00AA8545
	v_cndmask_b32_e64 v255, v69, v67, s[78:79]                 // 00000002F024: D10000FF 013A8745
	v_cvt_f32_i32_e32 v144, v144                               // 00000002F02C: 7F200B90
	v_cvt_f32_i32_e32 v145, v145                               // 00000002F030: 7F220B91
	v_cvt_f32_i32_e32 v146, v146                               // 00000002F034: 7F240B92
	v_cvt_f32_i32_e32 v147, v147                               // 00000002F038: 7F260B93
	v_cvt_f32_i32_e32 v148, v148                               // 00000002F03C: 7F280B94
	v_cvt_f32_i32_e32 v149, v149                               // 00000002F040: 7F2A0B95
	v_cvt_f32_i32_e32 v150, v150                               // 00000002F044: 7F2C0B96
	v_cvt_f32_i32_e32 v151, v151                               // 00000002F048: 7F2E0B97
	v_cvt_f32_i32_e32 v152, v152                               // 00000002F04C: 7F300B98
	v_cvt_f32_i32_e32 v153, v153                               // 00000002F050: 7F320B99
	v_cvt_f32_i32_e32 v154, v154                               // 00000002F054: 7F340B9A
	v_cvt_f32_i32_e32 v155, v155                               // 00000002F058: 7F360B9B
	v_cvt_f32_i32_e32 v156, v156                               // 00000002F05C: 7F380B9C
	v_cvt_f32_i32_e32 v157, v157                               // 00000002F060: 7F3A0B9D
	v_cvt_f32_i32_e32 v158, v158                               // 00000002F064: 7F3C0B9E
	v_cvt_f32_i32_e32 v159, v159                               // 00000002F068: 7F3E0B9F
	v_mul_f32_e32 v144, v20, v144                              // 00000002F06C: 0B212114
	v_mul_f32_e32 v145, v20, v145                              // 00000002F070: 0B232314
	v_mul_f32_e32 v146, v20, v146                              // 00000002F074: 0B252514
	v_mul_f32_e32 v147, v20, v147                              // 00000002F078: 0B272714
	v_mul_f32_e32 v148, v20, v148                              // 00000002F07C: 0B292914
	v_mul_f32_e32 v149, v20, v149                              // 00000002F080: 0B2B2B14
	v_mul_f32_e32 v150, v20, v150                              // 00000002F084: 0B2D2D14
	v_mul_f32_e32 v151, v20, v151                              // 00000002F088: 0B2F2F14
	v_mul_f32_e32 v152, v20, v152                              // 00000002F08C: 0B313114
	v_mul_f32_e32 v153, v20, v153                              // 00000002F090: 0B333314
	v_mul_f32_e32 v154, v20, v154                              // 00000002F094: 0B353514
	v_mul_f32_e32 v155, v20, v155                              // 00000002F098: 0B373714
	v_mul_f32_e32 v156, v20, v156                              // 00000002F09C: 0B393914
	v_mul_f32_e32 v157, v20, v157                              // 00000002F0A0: 0B3B3B14
	v_mul_f32_e32 v158, v20, v158                              // 00000002F0A4: 0B3D3D14
	v_mul_f32_e32 v159, v20, v159                              // 00000002F0A8: 0B3F3F14
	v_mul_f32_dpp v144, v248, v144 quad_perm:[0,0,0,0] row_mask:0xf bank_mask:0xf// 00000002F0AC: 0B2120FA FF0000F8
	v_mul_f32_dpp v145, v248, v145 quad_perm:[1,1,1,1] row_mask:0xf bank_mask:0xf// 00000002F0B4: 0B2322FA FF0055F8
	v_mul_f32_dpp v146, v248, v146 quad_perm:[2,2,2,2] row_mask:0xf bank_mask:0xf// 00000002F0BC: 0B2524FA FF00AAF8
	v_mul_f32_dpp v147, v248, v147 quad_perm:[3,3,3,3] row_mask:0xf bank_mask:0xf// 00000002F0C4: 0B2726FA FF00FFF8
	v_mul_f32_dpp v148, v249, v148 quad_perm:[0,0,0,0] row_mask:0xf bank_mask:0xf// 00000002F0CC: 0B2928FA FF0000F9
	v_mul_f32_dpp v149, v249, v149 quad_perm:[1,1,1,1] row_mask:0xf bank_mask:0xf// 00000002F0D4: 0B2B2AFA FF0055F9
	v_mul_f32_dpp v150, v249, v150 quad_perm:[2,2,2,2] row_mask:0xf bank_mask:0xf// 00000002F0DC: 0B2D2CFA FF00AAF9
	v_mul_f32_dpp v151, v249, v151 quad_perm:[3,3,3,3] row_mask:0xf bank_mask:0xf// 00000002F0E4: 0B2F2EFA FF00FFF9
	v_mul_f32_dpp v152, v250, v152 quad_perm:[0,0,0,0] row_mask:0xf bank_mask:0xf// 00000002F0EC: 0B3130FA FF0000FA
	v_mul_f32_dpp v153, v250, v153 quad_perm:[1,1,1,1] row_mask:0xf bank_mask:0xf// 00000002F0F4: 0B3332FA FF0055FA
	v_mul_f32_dpp v154, v250, v154 quad_perm:[2,2,2,2] row_mask:0xf bank_mask:0xf// 00000002F0FC: 0B3534FA FF00AAFA
	v_mul_f32_dpp v155, v250, v155 quad_perm:[3,3,3,3] row_mask:0xf bank_mask:0xf// 00000002F104: 0B3736FA FF00FFFA
	v_mul_f32_dpp v156, v251, v156 quad_perm:[0,0,0,0] row_mask:0xf bank_mask:0xf// 00000002F10C: 0B3938FA FF0000FB
	v_mul_f32_dpp v157, v251, v157 quad_perm:[1,1,1,1] row_mask:0xf bank_mask:0xf// 00000002F114: 0B3B3AFA FF0055FB
	v_mul_f32_dpp v158, v251, v158 quad_perm:[2,2,2,2] row_mask:0xf bank_mask:0xf// 00000002F11C: 0B3D3CFA FF00AAFB
	v_mul_f32_dpp v159, v251, v159 quad_perm:[3,3,3,3] row_mask:0xf bank_mask:0xf// 00000002F124: 0B3F3EFA FF00FFFB
	s_cmp_le_i32 s90, s89                                      // 00000002F12C: BF05595A
	s_cbranch_scc1 label_B43E                                  // 00000002F130: BF850071
	v_mov_b32_e32 v66, 0xff800000                              // 00000002F134: 7E8402FF FF800000
	s_mov_b32 s60, s90                                         // 00000002F13C: BEBC005A
	s_add_u32 s61, s89, 0xff                                   // 00000002F140: 803DFF59 000000FF
	v_mov_b32_e32 v64, s61                                     // 00000002F148: 7E80023D
	v_lshrrev_b32_e32 v240, 4, v0                              // 00000002F14C: 21E00084
	v_mul_i32_i24_e32 v240, 4, v240                            // 00000002F150: 0DE1E084
	v_add_u32_e32 v240, s60, v240                              // 00000002F154: 69E1E03C
	s_mov_b32 s61, 2                                           // 00000002F158: BEBD0082
	s_mul_i32 s60, 16, s7                                      // 00000002F15C: 923C0790
	v_sub_u32_e64 v240, v240, s61                              // 00000002F160: D13500F0 00007BF0
	v_add_u32_e32 v240, s60, v240                              // 00000002F168: 69E1E03C
	v_add_u32_e32 v241, 1, v240                                // 00000002F16C: 69E3E081
	v_add_u32_e32 v242, 2, v240                                // 00000002F170: 69E5E082
	v_add_u32_e32 v243, 3, v240                                // 00000002F174: 69E7E083
	v_cmp_le_u32_e64 s[40:41], v240, v64                       // 00000002F178: D0CB0028 000281F0
	v_add_u32_e32 v240, 64, v240                               // 00000002F180: 69E1E0C0
	s_nop 0                                                    // 00000002F184: BF800000
	v_cndmask_b32_e64 v144, v66, v144, s[40:41]                // 00000002F188: D1000090 00A32142
	v_cmp_le_u32_e64 s[40:41], v241, v64                       // 00000002F190: D0CB0028 000281F1
	v_add_u32_e32 v241, 64, v241                               // 00000002F198: 69E3E2C0
	s_nop 0                                                    // 00000002F19C: BF800000
	v_cndmask_b32_e64 v145, v66, v145, s[40:41]                // 00000002F1A0: D1000091 00A32342
	v_cmp_le_u32_e64 s[40:41], v242, v64                       // 00000002F1A8: D0CB0028 000281F2
	v_add_u32_e32 v242, 64, v242                               // 00000002F1B0: 69E5E4C0
	s_nop 0                                                    // 00000002F1B4: BF800000
	v_cndmask_b32_e64 v146, v66, v146, s[40:41]                // 00000002F1B8: D1000092 00A32542
	v_cmp_le_u32_e64 s[40:41], v243, v64                       // 00000002F1C0: D0CB0028 000281F3
	v_add_u32_e32 v243, 64, v243                               // 00000002F1C8: 69E7E6C0
	s_nop 0                                                    // 00000002F1CC: BF800000
	v_cndmask_b32_e64 v147, v66, v147, s[40:41]                // 00000002F1D0: D1000093 00A32742
	v_cmp_le_u32_e64 s[40:41], v240, v64                       // 00000002F1D8: D0CB0028 000281F0
	v_add_u32_e32 v240, 64, v240                               // 00000002F1E0: 69E1E0C0
	s_nop 0                                                    // 00000002F1E4: BF800000
	v_cndmask_b32_e64 v148, v66, v148, s[40:41]                // 00000002F1E8: D1000094 00A32942
	v_cmp_le_u32_e64 s[40:41], v241, v64                       // 00000002F1F0: D0CB0028 000281F1
	v_add_u32_e32 v241, 64, v241                               // 00000002F1F8: 69E3E2C0
	s_nop 0                                                    // 00000002F1FC: BF800000
	v_cndmask_b32_e64 v149, v66, v149, s[40:41]                // 00000002F200: D1000095 00A32B42
	v_cmp_le_u32_e64 s[40:41], v242, v64                       // 00000002F208: D0CB0028 000281F2
	v_add_u32_e32 v242, 64, v242                               // 00000002F210: 69E5E4C0
	s_nop 0                                                    // 00000002F214: BF800000
	v_cndmask_b32_e64 v150, v66, v150, s[40:41]                // 00000002F218: D1000096 00A32D42
	v_cmp_le_u32_e64 s[40:41], v243, v64                       // 00000002F220: D0CB0028 000281F3
	v_add_u32_e32 v243, 64, v243                               // 00000002F228: 69E7E6C0
	s_nop 0                                                    // 00000002F22C: BF800000
	v_cndmask_b32_e64 v151, v66, v151, s[40:41]                // 00000002F230: D1000097 00A32F42
	v_cmp_le_u32_e64 s[40:41], v240, v64                       // 00000002F238: D0CB0028 000281F0
	v_add_u32_e32 v240, 64, v240                               // 00000002F240: 69E1E0C0
	s_nop 0                                                    // 00000002F244: BF800000
	v_cndmask_b32_e64 v152, v66, v152, s[40:41]                // 00000002F248: D1000098 00A33142
	v_cmp_le_u32_e64 s[40:41], v241, v64                       // 00000002F250: D0CB0028 000281F1
	v_add_u32_e32 v241, 64, v241                               // 00000002F258: 69E3E2C0
	s_nop 0                                                    // 00000002F25C: BF800000
	v_cndmask_b32_e64 v153, v66, v153, s[40:41]                // 00000002F260: D1000099 00A33342
	v_cmp_le_u32_e64 s[40:41], v242, v64                       // 00000002F268: D0CB0028 000281F2
	v_add_u32_e32 v242, 64, v242                               // 00000002F270: 69E5E4C0
	s_nop 0                                                    // 00000002F274: BF800000
	v_cndmask_b32_e64 v154, v66, v154, s[40:41]                // 00000002F278: D100009A 00A33542
	v_cmp_le_u32_e64 s[40:41], v243, v64                       // 00000002F280: D0CB0028 000281F3
	v_add_u32_e32 v243, 64, v243                               // 00000002F288: 69E7E6C0
	s_nop 0                                                    // 00000002F28C: BF800000
	v_cndmask_b32_e64 v155, v66, v155, s[40:41]                // 00000002F290: D100009B 00A33742
	v_cmp_le_u32_e64 s[40:41], v240, v64                       // 00000002F298: D0CB0028 000281F0
	v_add_u32_e32 v240, 64, v240                               // 00000002F2A0: 69E1E0C0
	s_nop 0                                                    // 00000002F2A4: BF800000
	v_cndmask_b32_e64 v156, v66, v156, s[40:41]                // 00000002F2A8: D100009C 00A33942
	v_cmp_le_u32_e64 s[40:41], v241, v64                       // 00000002F2B0: D0CB0028 000281F1
	v_add_u32_e32 v241, 64, v241                               // 00000002F2B8: 69E3E2C0
	s_nop 0                                                    // 00000002F2BC: BF800000
	v_cndmask_b32_e64 v157, v66, v157, s[40:41]                // 00000002F2C0: D100009D 00A33B42
	v_cmp_le_u32_e64 s[40:41], v242, v64                       // 00000002F2C8: D0CB0028 000281F2
	v_add_u32_e32 v242, 64, v242                               // 00000002F2D0: 69E5E4C0
	s_nop 0                                                    // 00000002F2D4: BF800000
	v_cndmask_b32_e64 v158, v66, v158, s[40:41]                // 00000002F2D8: D100009E 00A33D42
	v_cmp_le_u32_e64 s[40:41], v243, v64                       // 00000002F2E0: D0CB0028 000281F3
	v_add_u32_e32 v243, 64, v243                               // 00000002F2E8: 69E7E6C0
	s_nop 0                                                    // 00000002F2EC: BF800000
	v_cndmask_b32_e64 v159, v66, v159, s[40:41]                // 00000002F2F0: D100009F 00A33F42

000000000002f2f8 <label_B43E>:
	s_and_b32 s60, s72, 0xff                                   // 00000002F2F8: 863CFF48 000000FF
	v_mov_b32_e32 v65, s60                                     // 00000002F300: 7E82023C
	v_lshrrev_b32_e32 v240, 4, v0                              // 00000002F304: 21E00084
	v_mul_i32_i24_e32 v240, 4, v240                            // 00000002F308: 0DE1E084
	s_mul_i32 s60, s7, 16                                      // 00000002F30C: 923C9007
	v_add_u32_e32 v240, s60, v240                              // 00000002F310: 69E1E03C
	v_add_u32_e32 v241, 1, v240                                // 00000002F314: 69E3E081
	v_add_u32_e32 v242, 2, v240                                // 00000002F318: 69E5E082
	v_add_u32_e32 v243, 3, v240                                // 00000002F31C: 69E7E083
	v_mov_b32_e32 v64, 0xff800000                              // 00000002F320: 7E8002FF FF800000
	v_cmp_lt_u32_e64 s[40:41], v240, v65                       // 00000002F328: D0C90028 000283F0
	v_add_u32_e32 v240, 64, v240                               // 00000002F330: 69E1E0C0
	s_nop 0                                                    // 00000002F334: BF800000
	v_cndmask_b32_e64 v144, v64, v144, s[40:41]                // 00000002F338: D1000090 00A32140
	v_cmp_lt_u32_e64 s[40:41], v241, v65                       // 00000002F340: D0C90028 000283F1
	v_add_u32_e32 v241, 64, v241                               // 00000002F348: 69E3E2C0
	s_nop 0                                                    // 00000002F34C: BF800000
	v_cndmask_b32_e64 v145, v64, v145, s[40:41]                // 00000002F350: D1000091 00A32340
	v_cmp_lt_u32_e64 s[40:41], v242, v65                       // 00000002F358: D0C90028 000283F2
	v_add_u32_e32 v242, 64, v242                               // 00000002F360: 69E5E4C0
	s_nop 0                                                    // 00000002F364: BF800000
	v_cndmask_b32_e64 v146, v64, v146, s[40:41]                // 00000002F368: D1000092 00A32540
	v_cmp_lt_u32_e64 s[40:41], v243, v65                       // 00000002F370: D0C90028 000283F3
	v_add_u32_e32 v243, 64, v243                               // 00000002F378: 69E7E6C0
	s_nop 0                                                    // 00000002F37C: BF800000
	v_cndmask_b32_e64 v147, v64, v147, s[40:41]                // 00000002F380: D1000093 00A32740
	v_cmp_lt_u32_e64 s[40:41], v240, v65                       // 00000002F388: D0C90028 000283F0
	v_add_u32_e32 v240, 64, v240                               // 00000002F390: 69E1E0C0
	s_nop 0                                                    // 00000002F394: BF800000
	v_cndmask_b32_e64 v148, v64, v148, s[40:41]                // 00000002F398: D1000094 00A32940
	v_cmp_lt_u32_e64 s[40:41], v241, v65                       // 00000002F3A0: D0C90028 000283F1
	v_add_u32_e32 v241, 64, v241                               // 00000002F3A8: 69E3E2C0
	s_nop 0                                                    // 00000002F3AC: BF800000
	v_cndmask_b32_e64 v149, v64, v149, s[40:41]                // 00000002F3B0: D1000095 00A32B40
	v_cmp_lt_u32_e64 s[40:41], v242, v65                       // 00000002F3B8: D0C90028 000283F2
	v_add_u32_e32 v242, 64, v242                               // 00000002F3C0: 69E5E4C0
	s_nop 0                                                    // 00000002F3C4: BF800000
	v_cndmask_b32_e64 v150, v64, v150, s[40:41]                // 00000002F3C8: D1000096 00A32D40
	v_cmp_lt_u32_e64 s[40:41], v243, v65                       // 00000002F3D0: D0C90028 000283F3
	v_add_u32_e32 v243, 64, v243                               // 00000002F3D8: 69E7E6C0
	s_nop 0                                                    // 00000002F3DC: BF800000
	v_cndmask_b32_e64 v151, v64, v151, s[40:41]                // 00000002F3E0: D1000097 00A32F40
	v_cmp_lt_u32_e64 s[40:41], v240, v65                       // 00000002F3E8: D0C90028 000283F0
	v_add_u32_e32 v240, 64, v240                               // 00000002F3F0: 69E1E0C0
	s_nop 0                                                    // 00000002F3F4: BF800000
	v_cndmask_b32_e64 v152, v64, v152, s[40:41]                // 00000002F3F8: D1000098 00A33140
	v_cmp_lt_u32_e64 s[40:41], v241, v65                       // 00000002F400: D0C90028 000283F1
	v_add_u32_e32 v241, 64, v241                               // 00000002F408: 69E3E2C0
	s_nop 0                                                    // 00000002F40C: BF800000
	v_cndmask_b32_e64 v153, v64, v153, s[40:41]                // 00000002F410: D1000099 00A33340
	v_cmp_lt_u32_e64 s[40:41], v242, v65                       // 00000002F418: D0C90028 000283F2
	v_add_u32_e32 v242, 64, v242                               // 00000002F420: 69E5E4C0
	s_nop 0                                                    // 00000002F424: BF800000
	v_cndmask_b32_e64 v154, v64, v154, s[40:41]                // 00000002F428: D100009A 00A33540
	v_cmp_lt_u32_e64 s[40:41], v243, v65                       // 00000002F430: D0C90028 000283F3
	v_add_u32_e32 v243, 64, v243                               // 00000002F438: 69E7E6C0
	s_nop 0                                                    // 00000002F43C: BF800000
	v_cndmask_b32_e64 v155, v64, v155, s[40:41]                // 00000002F440: D100009B 00A33740
	v_cmp_lt_u32_e64 s[40:41], v240, v65                       // 00000002F448: D0C90028 000283F0
	v_add_u32_e32 v240, 64, v240                               // 00000002F450: 69E1E0C0
	s_nop 0                                                    // 00000002F454: BF800000
	v_cndmask_b32_e64 v156, v64, v156, s[40:41]                // 00000002F458: D100009C 00A33940
	v_cmp_lt_u32_e64 s[40:41], v241, v65                       // 00000002F460: D0C90028 000283F1
	v_add_u32_e32 v241, 64, v241                               // 00000002F468: 69E3E2C0
	s_nop 0                                                    // 00000002F46C: BF800000
	v_cndmask_b32_e64 v157, v64, v157, s[40:41]                // 00000002F470: D100009D 00A33B40
	v_cmp_lt_u32_e64 s[40:41], v242, v65                       // 00000002F478: D0C90028 000283F2
	v_add_u32_e32 v242, 64, v242                               // 00000002F480: 69E5E4C0
	s_nop 0                                                    // 00000002F484: BF800000
	v_cndmask_b32_e64 v158, v64, v158, s[40:41]                // 00000002F488: D100009E 00A33D40
	v_cmp_lt_u32_e64 s[40:41], v243, v65                       // 00000002F490: D0C90028 000283F3
	v_add_u32_e32 v243, 64, v243                               // 00000002F498: 69E7E6C0
	s_nop 0                                                    // 00000002F49C: BF800000
	v_cndmask_b32_e64 v159, v64, v159, s[40:41]                // 00000002F4A0: D100009F 00A33F40
	v_mov_b32_e32 v48, v144                                    // 00000002F4A8: 7E600390
	v_max3_f32 v48, v144, v145, v48                            // 00000002F4AC: D1D30030 04C32390
	v_max3_f32 v48, v146, v147, v48                            // 00000002F4B4: D1D30030 04C32792
	v_max3_f32 v48, v148, v149, v48                            // 00000002F4BC: D1D30030 04C32B94
	v_max3_f32 v48, v150, v151, v48                            // 00000002F4C4: D1D30030 04C32F96
	v_max3_f32 v48, v152, v153, v48                            // 00000002F4CC: D1D30030 04C33398
	v_max3_f32 v48, v154, v155, v48                            // 00000002F4D4: D1D30030 04C3379A
	v_max3_f32 v48, v156, v157, v48                            // 00000002F4DC: D1D30030 04C33B9C
	v_max3_f32 v48, v158, v159, v48                            // 00000002F4E4: D1D30030 04C33F9E
	ds_write_b32 v8, v48 offset:16896                          // 00000002F4EC: D81A4200 00003008
	v_mul_f32_e32 v224, v51, v224                              // 00000002F4F4: 0BC1C133
	v_mul_f32_e32 v225, v51, v225                              // 00000002F4F8: 0BC3C333
	v_mul_f32_e32 v226, v51, v226                              // 00000002F4FC: 0BC5C533
	v_mul_f32_e32 v227, v51, v227                              // 00000002F500: 0BC7C733
	v_mul_f32_e32 v228, v51, v228                              // 00000002F504: 0BC9C933
	v_mul_f32_e32 v229, v51, v229                              // 00000002F508: 0BCBCB33
	v_mul_f32_e32 v230, v51, v230                              // 00000002F50C: 0BCDCD33
	v_mul_f32_e32 v231, v51, v231                              // 00000002F510: 0BCFCF33
	s_waitcnt lgkmcnt(0)                                       // 00000002F514: BF8CC07F
	s_barrier                                                  // 00000002F518: BF8A0000
	ds_read_b32 v64, v7 offset:16896                           // 00000002F51C: D86C4200 40000007
	ds_read_b32 v65, v7 offset:16960                           // 00000002F524: D86C4240 41000007
	ds_read_b32 v66, v7 offset:17024                           // 00000002F52C: D86C4280 42000007
	ds_read_b32 v67, v7 offset:17088                           // 00000002F534: D86C42C0 43000007
	ds_read_b32 v68, v7 offset:17152                           // 00000002F53C: D86C4300 44000007
	ds_read_b32 v69, v7 offset:17216                           // 00000002F544: D86C4340 45000007
	ds_read_b32 v70, v7 offset:17280                           // 00000002F54C: D86C4380 46000007
	ds_read_b32 v71, v7 offset:17344                           // 00000002F554: D86C43C0 47000007
	ds_read_b32 v72, v7 offset:17408                           // 00000002F55C: D86C4400 48000007
	ds_read_b32 v73, v7 offset:17472                           // 00000002F564: D86C4440 49000007
	ds_read_b32 v74, v7 offset:17536                           // 00000002F56C: D86C4480 4A000007
	ds_read_b32 v75, v7 offset:17600                           // 00000002F574: D86C44C0 4B000007
	ds_read_b32 v76, v7 offset:17664                           // 00000002F57C: D86C4500 4C000007
	ds_read_b32 v77, v7 offset:17728                           // 00000002F584: D86C4540 4D000007
	ds_read_b32 v78, v7 offset:17792                           // 00000002F58C: D86C4580 4E000007
	ds_read_b32 v79, v7 offset:17856                           // 00000002F594: D86C45C0 4F000007
	v_cvt_f32_i32_e32 v192, v192                               // 00000002F59C: 7F800BC0
	v_cvt_f32_i32_e32 v193, v193                               // 00000002F5A0: 7F820BC1
	v_cvt_f32_i32_e32 v194, v194                               // 00000002F5A4: 7F840BC2
	v_cvt_f32_i32_e32 v195, v195                               // 00000002F5A8: 7F860BC3
	v_cvt_f32_i32_e32 v196, v196                               // 00000002F5AC: 7F880BC4
	v_cvt_f32_i32_e32 v197, v197                               // 00000002F5B0: 7F8A0BC5
	v_cvt_f32_i32_e32 v198, v198                               // 00000002F5B4: 7F8C0BC6
	v_cvt_f32_i32_e32 v199, v199                               // 00000002F5B8: 7F8E0BC7
	v_mul_f32_e32 v192, v46, v192                              // 00000002F5BC: 0B81812E
	v_mul_f32_e32 v193, v46, v193                              // 00000002F5C0: 0B83832E
	v_mul_f32_e32 v194, v46, v194                              // 00000002F5C4: 0B85852E
	v_mul_f32_e32 v195, v46, v195                              // 00000002F5C8: 0B87872E
	v_mul_f32_e32 v196, v46, v196                              // 00000002F5CC: 0B89892E
	v_mul_f32_e32 v197, v46, v197                              // 00000002F5D0: 0B8B8B2E
	v_mul_f32_e32 v198, v46, v198                              // 00000002F5D4: 0B8D8D2E
	v_mul_f32_e32 v199, v46, v199                              // 00000002F5D8: 0B8F8F2E
	s_waitcnt lgkmcnt(0)                                       // 00000002F5DC: BF8CC07F
	v_max3_f32 v48, v64, v65, v48                              // 00000002F5E0: D1D30030 04C28340
	v_max3_f32 v48, v66, v67, v48                              // 00000002F5E8: D1D30030 04C28742
	v_max3_f32 v48, v68, v69, v48                              // 00000002F5F0: D1D30030 04C28B44
	v_max3_f32 v48, v70, v71, v48                              // 00000002F5F8: D1D30030 04C28F46
	v_max3_f32 v48, v72, v73, v48                              // 00000002F600: D1D30030 04C29348
	v_max3_f32 v48, v74, v75, v48                              // 00000002F608: D1D30030 04C2974A
	v_max3_f32 v48, v76, v77, v48                              // 00000002F610: D1D30030 04C29B4C
	v_max3_f32 v48, v78, v79, v48                              // 00000002F618: D1D30030 04C29F4E
	v_mov_b32_e32 v64, 0xff800000                              // 00000002F620: 7E8002FF FF800000
	v_cmp_eq_u32_e64 s[40:41], v64, v13                        // 00000002F628: D0CA0028 00021B40
	s_nop 1                                                    // 00000002F630: BF800001
	v_max_f32_e32 v15, v48, v13                                // 00000002F634: 161E1B30
	v_mul_f32_e32 v53, s64, v15                                // 00000002F638: 0A6A1E40
	v_fma_f32 v144, v144, s64, -v53                            // 00000002F63C: D1CB0090 84D48190
	v_fma_f32 v145, v145, s64, -v53                            // 00000002F644: D1CB0091 84D48191
	v_fma_f32 v146, v146, s64, -v53                            // 00000002F64C: D1CB0092 84D48192
	v_fma_f32 v147, v147, s64, -v53                            // 00000002F654: D1CB0093 84D48193
	v_fma_f32 v148, v148, s64, -v53                            // 00000002F65C: D1CB0094 84D48194
	v_fma_f32 v149, v149, s64, -v53                            // 00000002F664: D1CB0095 84D48195
	v_fma_f32 v150, v150, s64, -v53                            // 00000002F66C: D1CB0096 84D48196
	v_fma_f32 v151, v151, s64, -v53                            // 00000002F674: D1CB0097 84D48197
	v_fma_f32 v152, v152, s64, -v53                            // 00000002F67C: D1CB0098 84D48198
	v_fma_f32 v153, v153, s64, -v53                            // 00000002F684: D1CB0099 84D48199
	v_fma_f32 v154, v154, s64, -v53                            // 00000002F68C: D1CB009A 84D4819A
	v_fma_f32 v155, v155, s64, -v53                            // 00000002F694: D1CB009B 84D4819B
	v_fma_f32 v156, v156, s64, -v53                            // 00000002F69C: D1CB009C 84D4819C
	v_fma_f32 v157, v157, s64, -v53                            // 00000002F6A4: D1CB009D 84D4819D
	v_fma_f32 v158, v158, s64, -v53                            // 00000002F6AC: D1CB009E 84D4819E
	v_fma_f32 v159, v159, s64, -v53                            // 00000002F6B4: D1CB009F 84D4819F
	v_exp_f32_e32 v144, v144                                   // 00000002F6BC: 7F204190
	v_exp_f32_e32 v145, v145                                   // 00000002F6C0: 7F224191
	v_exp_f32_e32 v146, v146                                   // 00000002F6C4: 7F244192
	v_exp_f32_e32 v147, v147                                   // 00000002F6C8: 7F264193
	v_exp_f32_e32 v148, v148                                   // 00000002F6CC: 7F284194
	v_exp_f32_e32 v149, v149                                   // 00000002F6D0: 7F2A4195
	v_exp_f32_e32 v150, v150                                   // 00000002F6D4: 7F2C4196
	v_exp_f32_e32 v151, v151                                   // 00000002F6D8: 7F2E4197
	v_exp_f32_e32 v152, v152                                   // 00000002F6DC: 7F304198
	v_exp_f32_e32 v153, v153                                   // 00000002F6E0: 7F324199
	v_exp_f32_e32 v154, v154                                   // 00000002F6E4: 7F34419A
	v_exp_f32_e32 v155, v155                                   // 00000002F6E8: 7F36419B
	v_exp_f32_e32 v156, v156                                   // 00000002F6EC: 7F38419C
	v_exp_f32_e32 v157, v157                                   // 00000002F6F0: 7F3A419D
	v_exp_f32_e32 v158, v158                                   // 00000002F6F4: 7F3C419E
	v_exp_f32_e32 v159, v159                                   // 00000002F6F8: 7F3E419F
	v_mul_f32_dpp v240, v252, v144 quad_perm:[0,0,0,0] row_mask:0xf bank_mask:0xf// 00000002F6FC: 0BE120FA FF0000FC
	v_mul_f32_dpp v241, v252, v145 quad_perm:[1,1,1,1] row_mask:0xf bank_mask:0xf// 00000002F704: 0BE322FA FF0055FC
	v_mul_f32_dpp v242, v252, v146 quad_perm:[2,2,2,2] row_mask:0xf bank_mask:0xf// 00000002F70C: 0BE524FA FF00AAFC
	v_mul_f32_dpp v243, v252, v147 quad_perm:[3,3,3,3] row_mask:0xf bank_mask:0xf// 00000002F714: 0BE726FA FF00FFFC
	v_mul_f32_dpp v244, v253, v148 quad_perm:[0,0,0,0] row_mask:0xf bank_mask:0xf// 00000002F71C: 0BE928FA FF0000FD
	v_mul_f32_dpp v245, v253, v149 quad_perm:[1,1,1,1] row_mask:0xf bank_mask:0xf// 00000002F724: 0BEB2AFA FF0055FD
	v_mul_f32_dpp v246, v253, v150 quad_perm:[2,2,2,2] row_mask:0xf bank_mask:0xf// 00000002F72C: 0BED2CFA FF00AAFD
	v_mul_f32_dpp v247, v253, v151 quad_perm:[3,3,3,3] row_mask:0xf bank_mask:0xf// 00000002F734: 0BEF2EFA FF00FFFD
	v_mul_f32_dpp v248, v254, v152 quad_perm:[0,0,0,0] row_mask:0xf bank_mask:0xf// 00000002F73C: 0BF130FA FF0000FE
	v_mul_f32_dpp v249, v254, v153 quad_perm:[1,1,1,1] row_mask:0xf bank_mask:0xf// 00000002F744: 0BF332FA FF0055FE
	v_mul_f32_dpp v250, v254, v154 quad_perm:[2,2,2,2] row_mask:0xf bank_mask:0xf// 00000002F74C: 0BF534FA FF00AAFE
	v_mul_f32_dpp v251, v254, v155 quad_perm:[3,3,3,3] row_mask:0xf bank_mask:0xf// 00000002F754: 0BF736FA FF00FFFE
	v_mul_f32_dpp v252, v255, v156 quad_perm:[0,0,0,0] row_mask:0xf bank_mask:0xf// 00000002F75C: 0BF938FA FF0000FF
	v_mul_f32_dpp v253, v255, v157 quad_perm:[1,1,1,1] row_mask:0xf bank_mask:0xf// 00000002F764: 0BFB3AFA FF0055FF
	v_mul_f32_dpp v254, v255, v158 quad_perm:[2,2,2,2] row_mask:0xf bank_mask:0xf// 00000002F76C: 0BFD3CFA FF00AAFF
	v_mul_f32_dpp v255, v255, v159 quad_perm:[3,3,3,3] row_mask:0xf bank_mask:0xf// 00000002F774: 0BFF3EFA FF00FFFF
	v_mov_b32_e32 v48, 0x358637bd                              // 00000002F77C: 7E6002FF 358637BD
	v_max3_f32 v48, |v240|, |v241|, v48                        // 00000002F784: D1D30330 04C3E3F0
	v_max3_f32 v48, |v242|, |v243|, v48                        // 00000002F78C: D1D30330 04C3E7F2
	v_max3_f32 v48, |v244|, |v245|, v48                        // 00000002F794: D1D30330 04C3EBF4
	v_max3_f32 v48, |v246|, |v247|, v48                        // 00000002F79C: D1D30330 04C3EFF6
	v_max3_f32 v48, |v248|, |v249|, v48                        // 00000002F7A4: D1D30330 04C3F3F8
	v_max3_f32 v48, |v250|, |v251|, v48                        // 00000002F7AC: D1D30330 04C3F7FA
	v_max3_f32 v48, |v252|, |v253|, v48                        // 00000002F7B4: D1D30330 04C3FBFC
	v_max3_f32 v48, |v254|, |v255|, v48                        // 00000002F7BC: D1D30330 04C3FFFE
	ds_write_b32 v8, v48 offset:20992                          // 00000002F7C4: D81A5200 00003008
	v_sub_f32_e32 v51, v13, v15                                // 00000002F7CC: 04661F0D
	v_cndmask_b32_e64 v51, v51, 0, s[40:41]                    // 00000002F7D0: D1000033 00A10133
	v_mov_b32_e32 v13, v15                                     // 00000002F7D8: 7E1A030F
	v_mul_f32_e32 v51, s64, v51                                // 00000002F7DC: 0A666640
	v_exp_f32_e32 v51, v51                                     // 00000002F7E0: 7E664133
	s_waitcnt lgkmcnt(0)                                       // 00000002F7E4: BF8CC07F
	s_barrier                                                  // 00000002F7E8: BF8A0000
	ds_read_b32 v64, v7 offset:20992                           // 00000002F7EC: D86C5200 40000007
	ds_read_b32 v65, v7 offset:21056                           // 00000002F7F4: D86C5240 41000007
	ds_read_b32 v66, v7 offset:21120                           // 00000002F7FC: D86C5280 42000007
	ds_read_b32 v67, v7 offset:21184                           // 00000002F804: D86C52C0 43000007
	ds_read_b32 v68, v7 offset:21248                           // 00000002F80C: D86C5300 44000007
	ds_read_b32 v69, v7 offset:21312                           // 00000002F814: D86C5340 45000007
	ds_read_b32 v70, v7 offset:21376                           // 00000002F81C: D86C5380 46000007
	ds_read_b32 v71, v7 offset:21440                           // 00000002F824: D86C53C0 47000007
	ds_read_b32 v72, v7 offset:21504                           // 00000002F82C: D86C5400 48000007
	ds_read_b32 v73, v7 offset:21568                           // 00000002F834: D86C5440 49000007
	ds_read_b32 v74, v7 offset:21632                           // 00000002F83C: D86C5480 4A000007
	ds_read_b32 v75, v7 offset:21696                           // 00000002F844: D86C54C0 4B000007
	ds_read_b32 v76, v7 offset:21760                           // 00000002F84C: D86C5500 4C000007
	ds_read_b32 v77, v7 offset:21824                           // 00000002F854: D86C5540 4D000007
	ds_read_b32 v78, v7 offset:21888                           // 00000002F85C: D86C5580 4E000007
	ds_read_b32 v79, v7 offset:21952                           // 00000002F864: D86C55C0 4F000007
	v_mul_f32_e32 v40, v51, v40                                // 00000002F86C: 0A505133
	v_mov_b32_e32 v15, v144                                    // 00000002F870: 7E1E0390
	v_add_f32_e32 v15, v145, v15                               // 00000002F874: 021E1F91
	v_add_f32_e32 v15, v146, v15                               // 00000002F878: 021E1F92
	v_add_f32_e32 v15, v147, v15                               // 00000002F87C: 021E1F93
	v_add_f32_e32 v15, v148, v15                               // 00000002F880: 021E1F94
	v_add_f32_e32 v15, v149, v15                               // 00000002F884: 021E1F95
	v_add_f32_e32 v15, v150, v15                               // 00000002F888: 021E1F96
	v_add_f32_e32 v15, v151, v15                               // 00000002F88C: 021E1F97
	v_add_f32_e32 v15, v152, v15                               // 00000002F890: 021E1F98
	v_add_f32_e32 v15, v153, v15                               // 00000002F894: 021E1F99
	v_add_f32_e32 v15, v154, v15                               // 00000002F898: 021E1F9A
	v_add_f32_e32 v15, v155, v15                               // 00000002F89C: 021E1F9B
	v_add_f32_e32 v15, v156, v15                               // 00000002F8A0: 021E1F9C
	v_add_f32_e32 v15, v157, v15                               // 00000002F8A4: 021E1F9D
	v_add_f32_e32 v15, v158, v15                               // 00000002F8A8: 021E1F9E
	v_add_f32_e32 v15, v159, v15                               // 00000002F8AC: 021E1F9F
	v_add_f32_e32 v40, v15, v40                                // 00000002F8B0: 0250510F
	s_waitcnt lgkmcnt(0)                                       // 00000002F8B4: BF8CC07F
	v_max3_f32 v48, |v64|, |v65|, v48                          // 00000002F8B8: D1D30330 04C28340
	v_max3_f32 v48, |v66|, |v67|, v48                          // 00000002F8C0: D1D30330 04C28742
	v_max3_f32 v48, |v68|, |v69|, v48                          // 00000002F8C8: D1D30330 04C28B44
	v_max3_f32 v48, |v70|, |v71|, v48                          // 00000002F8D0: D1D30330 04C28F46
	v_max3_f32 v48, |v72|, |v73|, v48                          // 00000002F8D8: D1D30330 04C29348
	v_max3_f32 v48, |v74|, |v75|, v48                          // 00000002F8E0: D1D30330 04C2974A
	v_max3_f32 v48, |v76|, |v77|, v48                          // 00000002F8E8: D1D30330 04C29B4C
	v_max3_f32 v48, |v78|, |v79|, v48                          // 00000002F8F0: D1D30330 04C29F4E
	s_nop 2                                                    // 00000002F8F8: BF800002
	v_rcp_f32_e32 v48, v48                                     // 00000002F8FC: 7E604530
	s_nop 1                                                    // 00000002F900: BF800001
	v_mul_f32_e32 v48, 0x42fe0000, v48                         // 00000002F904: 0A6060FF 42FE0000
	v_mul_f32_e32 v144, v48, v240                              // 00000002F90C: 0B21E130
	v_mul_f32_e32 v145, v48, v241                              // 00000002F910: 0B23E330
	v_mul_f32_e32 v146, v48, v242                              // 00000002F914: 0B25E530
	v_mul_f32_e32 v147, v48, v243                              // 00000002F918: 0B27E730
	v_mul_f32_e32 v148, v48, v244                              // 00000002F91C: 0B29E930
	v_mul_f32_e32 v149, v48, v245                              // 00000002F920: 0B2BEB30
	v_mul_f32_e32 v150, v48, v246                              // 00000002F924: 0B2DED30
	v_mul_f32_e32 v151, v48, v247                              // 00000002F928: 0B2FEF30
	v_mul_f32_e32 v152, v48, v248                              // 00000002F92C: 0B31F130
	v_mul_f32_e32 v153, v48, v249                              // 00000002F930: 0B33F330
	v_mul_f32_e32 v154, v48, v250                              // 00000002F934: 0B35F530
	v_mul_f32_e32 v155, v48, v251                              // 00000002F938: 0B37F730
	v_mul_f32_e32 v156, v48, v252                              // 00000002F93C: 0B39F930
	v_mul_f32_e32 v157, v48, v253                              // 00000002F940: 0B3BFB30
	v_mul_f32_e32 v158, v48, v254                              // 00000002F944: 0B3DFD30
	v_mul_f32_e32 v159, v48, v255                              // 00000002F948: 0B3FFF30
	v_cvt_i32_f32_e32 v144, v144                               // 00000002F94C: 7F201190
	v_cvt_i32_f32_e32 v145, v145                               // 00000002F950: 7F221191
	v_cvt_i32_f32_e32 v146, v146                               // 00000002F954: 7F241192
	v_cvt_i32_f32_e32 v147, v147                               // 00000002F958: 7F261193
	v_cvt_i32_f32_e32 v148, v148                               // 00000002F95C: 7F281194
	v_cvt_i32_f32_e32 v149, v149                               // 00000002F960: 7F2A1195
	v_cvt_i32_f32_e32 v150, v150                               // 00000002F964: 7F2C1196
	v_cvt_i32_f32_e32 v151, v151                               // 00000002F968: 7F2E1197
	v_cvt_i32_f32_e32 v152, v152                               // 00000002F96C: 7F301198
	v_cvt_i32_f32_e32 v153, v153                               // 00000002F970: 7F321199
	v_cvt_i32_f32_e32 v154, v154                               // 00000002F974: 7F34119A
	v_cvt_i32_f32_e32 v155, v155                               // 00000002F978: 7F36119B
	v_cvt_i32_f32_e32 v156, v156                               // 00000002F97C: 7F38119C
	v_cvt_i32_f32_e32 v157, v157                               // 00000002F980: 7F3A119D
	v_cvt_i32_f32_e32 v158, v158                               // 00000002F984: 7F3C119E
	v_cvt_i32_f32_e32 v159, v159                               // 00000002F988: 7F3E119F
	v_perm_b32 v144, v145, v144, s53                           // 00000002F98C: D1ED0090 00D72191
	v_perm_b32 v144, v146, v144, s54                           // 00000002F994: D1ED0090 00DB2192
	v_perm_b32 v144, v147, v144, s55                           // 00000002F99C: D1ED0090 00DF2193
	v_perm_b32 v145, v149, v148, s53                           // 00000002F9A4: D1ED0091 00D72995
	v_perm_b32 v145, v150, v145, s54                           // 00000002F9AC: D1ED0091 00DB2396
	v_perm_b32 v145, v151, v145, s55                           // 00000002F9B4: D1ED0091 00DF2397
	v_perm_b32 v146, v153, v152, s53                           // 00000002F9BC: D1ED0092 00D73199
	v_perm_b32 v146, v154, v146, s54                           // 00000002F9C4: D1ED0092 00DB259A
	v_perm_b32 v146, v155, v146, s55                           // 00000002F9CC: D1ED0092 00DF259B
	v_perm_b32 v147, v157, v156, s53                           // 00000002F9D4: D1ED0093 00D7399D
	v_perm_b32 v147, v158, v147, s54                           // 00000002F9DC: D1ED0093 00DB279E
	v_perm_b32 v147, v159, v147, s55                           // 00000002F9E4: D1ED0093 00DF279F
	ds_write_b32 v10, v144 offset:33280                        // 00000002F9EC: D81A8200 0000900A
	ds_write_b32 v10, v145 offset:34304                        // 00000002F9F4: D81A8600 0000910A
	ds_write_b32 v10, v146 offset:35328                        // 00000002F9FC: D81A8A00 0000920A
	ds_write_b32 v10, v147 offset:36352                        // 00000002FA04: D81A8E00 0000930A
	v_add_f32_e32 v224, v224, v192                             // 00000002FA0C: 03C181E0
	v_add_f32_e32 v225, v225, v193                             // 00000002FA10: 03C383E1
	v_add_f32_e32 v226, v226, v194                             // 00000002FA14: 03C585E2
	v_add_f32_e32 v227, v227, v195                             // 00000002FA18: 03C787E3
	v_add_f32_e32 v228, v228, v196                             // 00000002FA1C: 03C989E4
	v_add_f32_e32 v229, v229, v197                             // 00000002FA20: 03CB8BE5
	v_add_f32_e32 v230, v230, v198                             // 00000002FA24: 03CD8DE6
	v_add_f32_e32 v231, v231, v199                             // 00000002FA28: 03CF8FE7
	v_rcp_f32_e32 v46, v48                                     // 00000002FA2C: 7E5C4530
	s_waitcnt lgkmcnt(0)                                       // 00000002FA30: BF8CC07F
	s_barrier                                                  // 00000002FA34: BF8A0000
	ds_read_b64 v[144:145], v9 offset:33280                    // 00000002FA38: D8EC8200 90000009
	ds_read_b64 v[146:147], v9 offset:33408                    // 00000002FA40: D8EC8280 92000009
	ds_read_b64 v[148:149], v9 offset:34304                    // 00000002FA48: D8EC8600 94000009
	ds_read_b64 v[150:151], v9 offset:34432                    // 00000002FA50: D8EC8680 96000009
	ds_read_b64 v[152:153], v9 offset:35328                    // 00000002FA58: D8EC8A00 98000009
	ds_read_b64 v[154:155], v9 offset:35456                    // 00000002FA60: D8EC8A80 9A000009
	ds_read_b64 v[156:157], v9 offset:36352                    // 00000002FA68: D8EC8E00 9C000009
	ds_read_b64 v[158:159], v9 offset:36480                    // 00000002FA70: D8EC8E80 9E000009
	v_mov_b32_dpp v64, v43 row_shr:4 row_mask:0xf bank_mask:0xf// 00000002FA78: 7E8002FA FF01142B
	v_mov_b32_dpp v65, v43 row_shl:4 row_mask:0xf bank_mask:0xf// 00000002FA80: 7E8202FA FF01042B
	v_cndmask_b32_e64 v248, v43, v64, s[44:45]                 // 00000002FA88: D10000F8 00B2812B
	v_cndmask_b32_e64 v249, v65, v43, s[44:45]                 // 00000002FA90: D10000F9 00B25741
	v_mov_b32_dpp v64, v248 row_shr:8 row_mask:0xf bank_mask:0xf// 00000002FA98: 7E8002FA FF0118F8
	v_mov_b32_dpp v65, v248 row_shl:8 row_mask:0xf bank_mask:0xf// 00000002FAA0: 7E8202FA FF0108F8
	v_mov_b32_dpp v66, v249 row_shr:8 row_mask:0xf bank_mask:0xf// 00000002FAA8: 7E8402FA FF0118F9
	v_mov_b32_dpp v67, v249 row_shl:8 row_mask:0xf bank_mask:0xf// 00000002FAB0: 7E8602FA FF0108F9
	v_mov_b32_e32 v68, v248                                    // 00000002FAB8: 7E8803F8
	v_mov_b32_e32 v69, v249                                    // 00000002FABC: 7E8A03F9
	v_cndmask_b32_e64 v248, v68, v64, s[42:43]                 // 00000002FAC0: D10000F8 00AA8144
	v_cndmask_b32_e64 v250, v68, v65, s[78:79]                 // 00000002FAC8: D10000FA 013A8344
	v_cndmask_b32_e64 v249, v69, v66, s[42:43]                 // 00000002FAD0: D10000F9 00AA8545
	v_cndmask_b32_e64 v251, v69, v67, s[78:79]                 // 00000002FAD8: D10000FB 013A8745
	v_mov_b32_dpp v64, v58 row_shr:4 row_mask:0xf bank_mask:0xf// 00000002FAE0: 7E8002FA FF01143A
	v_mov_b32_dpp v65, v58 row_shl:4 row_mask:0xf bank_mask:0xf// 00000002FAE8: 7E8202FA FF01043A
	v_cndmask_b32_e64 v252, v58, v64, s[44:45]                 // 00000002FAF0: D10000FC 00B2813A
	v_cndmask_b32_e64 v253, v65, v58, s[44:45]                 // 00000002FAF8: D10000FD 00B27541
	v_mov_b32_dpp v64, v252 row_shr:8 row_mask:0xf bank_mask:0xf// 00000002FB00: 7E8002FA FF0118FC
	v_mov_b32_dpp v65, v252 row_shl:8 row_mask:0xf bank_mask:0xf// 00000002FB08: 7E8202FA FF0108FC
	v_mov_b32_dpp v66, v253 row_shr:8 row_mask:0xf bank_mask:0xf// 00000002FB10: 7E8402FA FF0118FD
	v_mov_b32_dpp v67, v253 row_shl:8 row_mask:0xf bank_mask:0xf// 00000002FB18: 7E8602FA FF0108FD
	v_mov_b32_e32 v68, v252                                    // 00000002FB20: 7E8803FC
	v_mov_b32_e32 v69, v253                                    // 00000002FB24: 7E8A03FD
	v_cndmask_b32_e64 v252, v68, v64, s[42:43]                 // 00000002FB28: D10000FC 00AA8144
	v_cndmask_b32_e64 v254, v68, v65, s[78:79]                 // 00000002FB30: D10000FE 013A8344
	v_cndmask_b32_e64 v253, v69, v66, s[42:43]                 // 00000002FB38: D10000FD 00AA8545
	v_cndmask_b32_e64 v255, v69, v67, s[78:79]                 // 00000002FB40: D10000FF 013A8745
	v_cvt_f32_i32_e32 v160, v160                               // 00000002FB48: 7F400BA0
	v_cvt_f32_i32_e32 v161, v161                               // 00000002FB4C: 7F420BA1
	v_cvt_f32_i32_e32 v162, v162                               // 00000002FB50: 7F440BA2
	v_cvt_f32_i32_e32 v163, v163                               // 00000002FB54: 7F460BA3
	v_cvt_f32_i32_e32 v164, v164                               // 00000002FB58: 7F480BA4
	v_cvt_f32_i32_e32 v165, v165                               // 00000002FB5C: 7F4A0BA5
	v_cvt_f32_i32_e32 v166, v166                               // 00000002FB60: 7F4C0BA6
	v_cvt_f32_i32_e32 v167, v167                               // 00000002FB64: 7F4E0BA7
	v_cvt_f32_i32_e32 v168, v168                               // 00000002FB68: 7F500BA8
	v_cvt_f32_i32_e32 v169, v169                               // 00000002FB6C: 7F520BA9
	v_cvt_f32_i32_e32 v170, v170                               // 00000002FB70: 7F540BAA
	v_cvt_f32_i32_e32 v171, v171                               // 00000002FB74: 7F560BAB
	v_cvt_f32_i32_e32 v172, v172                               // 00000002FB78: 7F580BAC
	v_cvt_f32_i32_e32 v173, v173                               // 00000002FB7C: 7F5A0BAD
	v_cvt_f32_i32_e32 v174, v174                               // 00000002FB80: 7F5C0BAE
	v_cvt_f32_i32_e32 v175, v175                               // 00000002FB84: 7F5E0BAF
	v_mul_f32_e32 v160, v21, v160                              // 00000002FB88: 0B414115
	v_mul_f32_e32 v161, v21, v161                              // 00000002FB8C: 0B434315
	v_mul_f32_e32 v162, v21, v162                              // 00000002FB90: 0B454515
	v_mul_f32_e32 v163, v21, v163                              // 00000002FB94: 0B474715
	v_mul_f32_e32 v164, v21, v164                              // 00000002FB98: 0B494915
	v_mul_f32_e32 v165, v21, v165                              // 00000002FB9C: 0B4B4B15
	v_mul_f32_e32 v166, v21, v166                              // 00000002FBA0: 0B4D4D15
	v_mul_f32_e32 v167, v21, v167                              // 00000002FBA4: 0B4F4F15
	v_mul_f32_e32 v168, v21, v168                              // 00000002FBA8: 0B515115
	v_mul_f32_e32 v169, v21, v169                              // 00000002FBAC: 0B535315
	v_mul_f32_e32 v170, v21, v170                              // 00000002FBB0: 0B555515
	v_mul_f32_e32 v171, v21, v171                              // 00000002FBB4: 0B575715
	v_mul_f32_e32 v172, v21, v172                              // 00000002FBB8: 0B595915
	v_mul_f32_e32 v173, v21, v173                              // 00000002FBBC: 0B5B5B15
	v_mul_f32_e32 v174, v21, v174                              // 00000002FBC0: 0B5D5D15
	v_mul_f32_e32 v175, v21, v175                              // 00000002FBC4: 0B5F5F15
	v_mul_f32_dpp v160, v248, v160 quad_perm:[0,0,0,0] row_mask:0xf bank_mask:0xf// 00000002FBC8: 0B4140FA FF0000F8
	v_mul_f32_dpp v161, v248, v161 quad_perm:[1,1,1,1] row_mask:0xf bank_mask:0xf// 00000002FBD0: 0B4342FA FF0055F8
	v_mul_f32_dpp v162, v248, v162 quad_perm:[2,2,2,2] row_mask:0xf bank_mask:0xf// 00000002FBD8: 0B4544FA FF00AAF8
	v_mul_f32_dpp v163, v248, v163 quad_perm:[3,3,3,3] row_mask:0xf bank_mask:0xf// 00000002FBE0: 0B4746FA FF00FFF8
	v_mul_f32_dpp v164, v249, v164 quad_perm:[0,0,0,0] row_mask:0xf bank_mask:0xf// 00000002FBE8: 0B4948FA FF0000F9
	v_mul_f32_dpp v165, v249, v165 quad_perm:[1,1,1,1] row_mask:0xf bank_mask:0xf// 00000002FBF0: 0B4B4AFA FF0055F9
	v_mul_f32_dpp v166, v249, v166 quad_perm:[2,2,2,2] row_mask:0xf bank_mask:0xf// 00000002FBF8: 0B4D4CFA FF00AAF9
	v_mul_f32_dpp v167, v249, v167 quad_perm:[3,3,3,3] row_mask:0xf bank_mask:0xf// 00000002FC00: 0B4F4EFA FF00FFF9
	v_mul_f32_dpp v168, v250, v168 quad_perm:[0,0,0,0] row_mask:0xf bank_mask:0xf// 00000002FC08: 0B5150FA FF0000FA
	v_mul_f32_dpp v169, v250, v169 quad_perm:[1,1,1,1] row_mask:0xf bank_mask:0xf// 00000002FC10: 0B5352FA FF0055FA
	v_mul_f32_dpp v170, v250, v170 quad_perm:[2,2,2,2] row_mask:0xf bank_mask:0xf// 00000002FC18: 0B5554FA FF00AAFA
	v_mul_f32_dpp v171, v250, v171 quad_perm:[3,3,3,3] row_mask:0xf bank_mask:0xf// 00000002FC20: 0B5756FA FF00FFFA
	v_mul_f32_dpp v172, v251, v172 quad_perm:[0,0,0,0] row_mask:0xf bank_mask:0xf// 00000002FC28: 0B5958FA FF0000FB
	v_mul_f32_dpp v173, v251, v173 quad_perm:[1,1,1,1] row_mask:0xf bank_mask:0xf// 00000002FC30: 0B5B5AFA FF0055FB
	v_mul_f32_dpp v174, v251, v174 quad_perm:[2,2,2,2] row_mask:0xf bank_mask:0xf// 00000002FC38: 0B5D5CFA FF00AAFB
	v_mul_f32_dpp v175, v251, v175 quad_perm:[3,3,3,3] row_mask:0xf bank_mask:0xf// 00000002FC40: 0B5F5EFA FF00FFFB
	s_cmp_le_i32 s90, s89                                      // 00000002FC48: BF05595A
	s_cbranch_scc1 label_B705                                  // 00000002FC4C: BF850071
	v_mov_b32_e32 v66, 0xff800000                              // 00000002FC50: 7E8402FF FF800000
	s_mov_b32 s60, s90                                         // 00000002FC58: BEBC005A
	s_add_u32 s61, s89, 0xff                                   // 00000002FC5C: 803DFF59 000000FF
	v_mov_b32_e32 v64, s61                                     // 00000002FC64: 7E80023D
	v_lshrrev_b32_e32 v240, 4, v0                              // 00000002FC68: 21E00084
	v_mul_i32_i24_e32 v240, 4, v240                            // 00000002FC6C: 0DE1E084
	v_add_u32_e32 v240, s60, v240                              // 00000002FC70: 69E1E03C
	s_mov_b32 s61, 3                                           // 00000002FC74: BEBD0083
	s_mul_i32 s60, 16, s7                                      // 00000002FC78: 923C0790
	v_sub_u32_e64 v240, v240, s61                              // 00000002FC7C: D13500F0 00007BF0
	v_add_u32_e32 v240, s60, v240                              // 00000002FC84: 69E1E03C
	v_add_u32_e32 v241, 1, v240                                // 00000002FC88: 69E3E081
	v_add_u32_e32 v242, 2, v240                                // 00000002FC8C: 69E5E082
	v_add_u32_e32 v243, 3, v240                                // 00000002FC90: 69E7E083
	v_cmp_le_u32_e64 s[40:41], v240, v64                       // 00000002FC94: D0CB0028 000281F0
	v_add_u32_e32 v240, 64, v240                               // 00000002FC9C: 69E1E0C0
	s_nop 0                                                    // 00000002FCA0: BF800000
	v_cndmask_b32_e64 v160, v66, v160, s[40:41]                // 00000002FCA4: D10000A0 00A34142
	v_cmp_le_u32_e64 s[40:41], v241, v64                       // 00000002FCAC: D0CB0028 000281F1
	v_add_u32_e32 v241, 64, v241                               // 00000002FCB4: 69E3E2C0
	s_nop 0                                                    // 00000002FCB8: BF800000
	v_cndmask_b32_e64 v161, v66, v161, s[40:41]                // 00000002FCBC: D10000A1 00A34342
	v_cmp_le_u32_e64 s[40:41], v242, v64                       // 00000002FCC4: D0CB0028 000281F2
	v_add_u32_e32 v242, 64, v242                               // 00000002FCCC: 69E5E4C0
	s_nop 0                                                    // 00000002FCD0: BF800000
	v_cndmask_b32_e64 v162, v66, v162, s[40:41]                // 00000002FCD4: D10000A2 00A34542
	v_cmp_le_u32_e64 s[40:41], v243, v64                       // 00000002FCDC: D0CB0028 000281F3
	v_add_u32_e32 v243, 64, v243                               // 00000002FCE4: 69E7E6C0
	s_nop 0                                                    // 00000002FCE8: BF800000
	v_cndmask_b32_e64 v163, v66, v163, s[40:41]                // 00000002FCEC: D10000A3 00A34742
	v_cmp_le_u32_e64 s[40:41], v240, v64                       // 00000002FCF4: D0CB0028 000281F0
	v_add_u32_e32 v240, 64, v240                               // 00000002FCFC: 69E1E0C0
	s_nop 0                                                    // 00000002FD00: BF800000
	v_cndmask_b32_e64 v164, v66, v164, s[40:41]                // 00000002FD04: D10000A4 00A34942
	v_cmp_le_u32_e64 s[40:41], v241, v64                       // 00000002FD0C: D0CB0028 000281F1
	v_add_u32_e32 v241, 64, v241                               // 00000002FD14: 69E3E2C0
	s_nop 0                                                    // 00000002FD18: BF800000
	v_cndmask_b32_e64 v165, v66, v165, s[40:41]                // 00000002FD1C: D10000A5 00A34B42
	v_cmp_le_u32_e64 s[40:41], v242, v64                       // 00000002FD24: D0CB0028 000281F2
	v_add_u32_e32 v242, 64, v242                               // 00000002FD2C: 69E5E4C0
	s_nop 0                                                    // 00000002FD30: BF800000
	v_cndmask_b32_e64 v166, v66, v166, s[40:41]                // 00000002FD34: D10000A6 00A34D42
	v_cmp_le_u32_e64 s[40:41], v243, v64                       // 00000002FD3C: D0CB0028 000281F3
	v_add_u32_e32 v243, 64, v243                               // 00000002FD44: 69E7E6C0
	s_nop 0                                                    // 00000002FD48: BF800000
	v_cndmask_b32_e64 v167, v66, v167, s[40:41]                // 00000002FD4C: D10000A7 00A34F42
	v_cmp_le_u32_e64 s[40:41], v240, v64                       // 00000002FD54: D0CB0028 000281F0
	v_add_u32_e32 v240, 64, v240                               // 00000002FD5C: 69E1E0C0
	s_nop 0                                                    // 00000002FD60: BF800000
	v_cndmask_b32_e64 v168, v66, v168, s[40:41]                // 00000002FD64: D10000A8 00A35142
	v_cmp_le_u32_e64 s[40:41], v241, v64                       // 00000002FD6C: D0CB0028 000281F1
	v_add_u32_e32 v241, 64, v241                               // 00000002FD74: 69E3E2C0
	s_nop 0                                                    // 00000002FD78: BF800000
	v_cndmask_b32_e64 v169, v66, v169, s[40:41]                // 00000002FD7C: D10000A9 00A35342
	v_cmp_le_u32_e64 s[40:41], v242, v64                       // 00000002FD84: D0CB0028 000281F2
	v_add_u32_e32 v242, 64, v242                               // 00000002FD8C: 69E5E4C0
	s_nop 0                                                    // 00000002FD90: BF800000
	v_cndmask_b32_e64 v170, v66, v170, s[40:41]                // 00000002FD94: D10000AA 00A35542
	v_cmp_le_u32_e64 s[40:41], v243, v64                       // 00000002FD9C: D0CB0028 000281F3
	v_add_u32_e32 v243, 64, v243                               // 00000002FDA4: 69E7E6C0
	s_nop 0                                                    // 00000002FDA8: BF800000
	v_cndmask_b32_e64 v171, v66, v171, s[40:41]                // 00000002FDAC: D10000AB 00A35742
	v_cmp_le_u32_e64 s[40:41], v240, v64                       // 00000002FDB4: D0CB0028 000281F0
	v_add_u32_e32 v240, 64, v240                               // 00000002FDBC: 69E1E0C0
	s_nop 0                                                    // 00000002FDC0: BF800000
	v_cndmask_b32_e64 v172, v66, v172, s[40:41]                // 00000002FDC4: D10000AC 00A35942
	v_cmp_le_u32_e64 s[40:41], v241, v64                       // 00000002FDCC: D0CB0028 000281F1
	v_add_u32_e32 v241, 64, v241                               // 00000002FDD4: 69E3E2C0
	s_nop 0                                                    // 00000002FDD8: BF800000
	v_cndmask_b32_e64 v173, v66, v173, s[40:41]                // 00000002FDDC: D10000AD 00A35B42
	v_cmp_le_u32_e64 s[40:41], v242, v64                       // 00000002FDE4: D0CB0028 000281F2
	v_add_u32_e32 v242, 64, v242                               // 00000002FDEC: 69E5E4C0
	s_nop 0                                                    // 00000002FDF0: BF800000
	v_cndmask_b32_e64 v174, v66, v174, s[40:41]                // 00000002FDF4: D10000AE 00A35D42
	v_cmp_le_u32_e64 s[40:41], v243, v64                       // 00000002FDFC: D0CB0028 000281F3
	v_add_u32_e32 v243, 64, v243                               // 00000002FE04: 69E7E6C0
	s_nop 0                                                    // 00000002FE08: BF800000
	v_cndmask_b32_e64 v175, v66, v175, s[40:41]                // 00000002FE0C: D10000AF 00A35F42

000000000002fe14 <label_B705>:
	s_add_u32 s90, s91, s90                                    // 00000002FE14: 805A5A5B
	s_and_b32 s60, s72, 0xff                                   // 00000002FE18: 863CFF48 000000FF
	v_mov_b32_e32 v65, s60                                     // 00000002FE20: 7E82023C
	v_lshrrev_b32_e32 v240, 4, v0                              // 00000002FE24: 21E00084
	v_mul_i32_i24_e32 v240, 4, v240                            // 00000002FE28: 0DE1E084
	s_mul_i32 s60, s7, 16                                      // 00000002FE2C: 923C9007
	v_add_u32_e32 v240, s60, v240                              // 00000002FE30: 69E1E03C
	v_add_u32_e32 v241, 1, v240                                // 00000002FE34: 69E3E081
	v_add_u32_e32 v242, 2, v240                                // 00000002FE38: 69E5E082
	v_add_u32_e32 v243, 3, v240                                // 00000002FE3C: 69E7E083
	v_mov_b32_e32 v64, 0xff800000                              // 00000002FE40: 7E8002FF FF800000
	v_cmp_lt_u32_e64 s[40:41], v240, v65                       // 00000002FE48: D0C90028 000283F0
	v_add_u32_e32 v240, 64, v240                               // 00000002FE50: 69E1E0C0
	s_nop 0                                                    // 00000002FE54: BF800000
	v_cndmask_b32_e64 v160, v64, v160, s[40:41]                // 00000002FE58: D10000A0 00A34140
	v_cmp_lt_u32_e64 s[40:41], v241, v65                       // 00000002FE60: D0C90028 000283F1
	v_add_u32_e32 v241, 64, v241                               // 00000002FE68: 69E3E2C0
	s_nop 0                                                    // 00000002FE6C: BF800000
	v_cndmask_b32_e64 v161, v64, v161, s[40:41]                // 00000002FE70: D10000A1 00A34340
	v_cmp_lt_u32_e64 s[40:41], v242, v65                       // 00000002FE78: D0C90028 000283F2
	v_add_u32_e32 v242, 64, v242                               // 00000002FE80: 69E5E4C0
	s_nop 0                                                    // 00000002FE84: BF800000
	v_cndmask_b32_e64 v162, v64, v162, s[40:41]                // 00000002FE88: D10000A2 00A34540
	v_cmp_lt_u32_e64 s[40:41], v243, v65                       // 00000002FE90: D0C90028 000283F3
	v_add_u32_e32 v243, 64, v243                               // 00000002FE98: 69E7E6C0
	s_nop 0                                                    // 00000002FE9C: BF800000
	v_cndmask_b32_e64 v163, v64, v163, s[40:41]                // 00000002FEA0: D10000A3 00A34740
	v_cmp_lt_u32_e64 s[40:41], v240, v65                       // 00000002FEA8: D0C90028 000283F0
	v_add_u32_e32 v240, 64, v240                               // 00000002FEB0: 69E1E0C0
	s_nop 0                                                    // 00000002FEB4: BF800000
	v_cndmask_b32_e64 v164, v64, v164, s[40:41]                // 00000002FEB8: D10000A4 00A34940
	v_cmp_lt_u32_e64 s[40:41], v241, v65                       // 00000002FEC0: D0C90028 000283F1
	v_add_u32_e32 v241, 64, v241                               // 00000002FEC8: 69E3E2C0
	s_nop 0                                                    // 00000002FECC: BF800000
	v_cndmask_b32_e64 v165, v64, v165, s[40:41]                // 00000002FED0: D10000A5 00A34B40
	v_cmp_lt_u32_e64 s[40:41], v242, v65                       // 00000002FED8: D0C90028 000283F2
	v_add_u32_e32 v242, 64, v242                               // 00000002FEE0: 69E5E4C0
	s_nop 0                                                    // 00000002FEE4: BF800000
	v_cndmask_b32_e64 v166, v64, v166, s[40:41]                // 00000002FEE8: D10000A6 00A34D40
	v_cmp_lt_u32_e64 s[40:41], v243, v65                       // 00000002FEF0: D0C90028 000283F3
	v_add_u32_e32 v243, 64, v243                               // 00000002FEF8: 69E7E6C0
	s_nop 0                                                    // 00000002FEFC: BF800000
	v_cndmask_b32_e64 v167, v64, v167, s[40:41]                // 00000002FF00: D10000A7 00A34F40
	v_cmp_lt_u32_e64 s[40:41], v240, v65                       // 00000002FF08: D0C90028 000283F0
	v_add_u32_e32 v240, 64, v240                               // 00000002FF10: 69E1E0C0
	s_nop 0                                                    // 00000002FF14: BF800000
	v_cndmask_b32_e64 v168, v64, v168, s[40:41]                // 00000002FF18: D10000A8 00A35140
	v_cmp_lt_u32_e64 s[40:41], v241, v65                       // 00000002FF20: D0C90028 000283F1
	v_add_u32_e32 v241, 64, v241                               // 00000002FF28: 69E3E2C0
	s_nop 0                                                    // 00000002FF2C: BF800000
	v_cndmask_b32_e64 v169, v64, v169, s[40:41]                // 00000002FF30: D10000A9 00A35340
	v_cmp_lt_u32_e64 s[40:41], v242, v65                       // 00000002FF38: D0C90028 000283F2
	v_add_u32_e32 v242, 64, v242                               // 00000002FF40: 69E5E4C0
	s_nop 0                                                    // 00000002FF44: BF800000
	v_cndmask_b32_e64 v170, v64, v170, s[40:41]                // 00000002FF48: D10000AA 00A35540
	v_cmp_lt_u32_e64 s[40:41], v243, v65                       // 00000002FF50: D0C90028 000283F3
	v_add_u32_e32 v243, 64, v243                               // 00000002FF58: 69E7E6C0
	s_nop 0                                                    // 00000002FF5C: BF800000
	v_cndmask_b32_e64 v171, v64, v171, s[40:41]                // 00000002FF60: D10000AB 00A35740
	v_cmp_lt_u32_e64 s[40:41], v240, v65                       // 00000002FF68: D0C90028 000283F0
	v_add_u32_e32 v240, 64, v240                               // 00000002FF70: 69E1E0C0
	s_nop 0                                                    // 00000002FF74: BF800000
	v_cndmask_b32_e64 v172, v64, v172, s[40:41]                // 00000002FF78: D10000AC 00A35940
	v_cmp_lt_u32_e64 s[40:41], v241, v65                       // 00000002FF80: D0C90028 000283F1
	v_add_u32_e32 v241, 64, v241                               // 00000002FF88: 69E3E2C0
	s_nop 0                                                    // 00000002FF8C: BF800000
	v_cndmask_b32_e64 v173, v64, v173, s[40:41]                // 00000002FF90: D10000AD 00A35B40
	v_cmp_lt_u32_e64 s[40:41], v242, v65                       // 00000002FF98: D0C90028 000283F2
	v_add_u32_e32 v242, 64, v242                               // 00000002FFA0: 69E5E4C0
	s_nop 0                                                    // 00000002FFA4: BF800000
	v_cndmask_b32_e64 v174, v64, v174, s[40:41]                // 00000002FFA8: D10000AE 00A35D40
	v_cmp_lt_u32_e64 s[40:41], v243, v65                       // 00000002FFB0: D0C90028 000283F3
	v_add_u32_e32 v243, 64, v243                               // 00000002FFB8: 69E7E6C0
	s_nop 0                                                    // 00000002FFBC: BF800000
	v_cndmask_b32_e64 v175, v64, v175, s[40:41]                // 00000002FFC0: D10000AF 00A35F40
	v_mov_b32_e32 v48, v160                                    // 00000002FFC8: 7E6003A0
	v_max3_f32 v48, v160, v161, v48                            // 00000002FFCC: D1D30030 04C343A0
	v_max3_f32 v48, v162, v163, v48                            // 00000002FFD4: D1D30030 04C347A2
	v_max3_f32 v48, v164, v165, v48                            // 00000002FFDC: D1D30030 04C34BA4
	v_max3_f32 v48, v166, v167, v48                            // 00000002FFE4: D1D30030 04C34FA6
	v_max3_f32 v48, v168, v169, v48                            // 00000002FFEC: D1D30030 04C353A8
	v_max3_f32 v48, v170, v171, v48                            // 00000002FFF4: D1D30030 04C357AA
	v_max3_f32 v48, v172, v173, v48                            // 00000002FFFC: D1D30030 04C35BAC
	v_max3_f32 v48, v174, v175, v48                            // 000000030004: D1D30030 04C35FAE
	ds_write_b32 v8, v48 offset:16896                          // 00000003000C: D81A4200 00003008
	v_mul_f32_e32 v232, v52, v232                              // 000000030014: 0BD1D134
	v_mul_f32_e32 v233, v52, v233                              // 000000030018: 0BD3D334
	v_mul_f32_e32 v234, v52, v234                              // 00000003001C: 0BD5D534
	v_mul_f32_e32 v235, v52, v235                              // 000000030020: 0BD7D734
	v_mul_f32_e32 v236, v52, v236                              // 000000030024: 0BD9D934
	v_mul_f32_e32 v237, v52, v237                              // 000000030028: 0BDBDB34
	v_mul_f32_e32 v238, v52, v238                              // 00000003002C: 0BDDDD34
	v_mul_f32_e32 v239, v52, v239                              // 000000030030: 0BDFDF34
	s_waitcnt lgkmcnt(0)                                       // 000000030034: BF8CC07F
	s_barrier                                                  // 000000030038: BF8A0000
	ds_read_b32 v64, v7 offset:16896                           // 00000003003C: D86C4200 40000007
	ds_read_b32 v65, v7 offset:16960                           // 000000030044: D86C4240 41000007
	ds_read_b32 v66, v7 offset:17024                           // 00000003004C: D86C4280 42000007
	ds_read_b32 v67, v7 offset:17088                           // 000000030054: D86C42C0 43000007
	ds_read_b32 v68, v7 offset:17152                           // 00000003005C: D86C4300 44000007
	ds_read_b32 v69, v7 offset:17216                           // 000000030064: D86C4340 45000007
	ds_read_b32 v70, v7 offset:17280                           // 00000003006C: D86C4380 46000007
	ds_read_b32 v71, v7 offset:17344                           // 000000030074: D86C43C0 47000007
	ds_read_b32 v72, v7 offset:17408                           // 00000003007C: D86C4400 48000007
	ds_read_b32 v73, v7 offset:17472                           // 000000030084: D86C4440 49000007
	ds_read_b32 v74, v7 offset:17536                           // 00000003008C: D86C4480 4A000007
	ds_read_b32 v75, v7 offset:17600                           // 000000030094: D86C44C0 4B000007
	ds_read_b32 v76, v7 offset:17664                           // 00000003009C: D86C4500 4C000007
	ds_read_b32 v77, v7 offset:17728                           // 0000000300A4: D86C4540 4D000007
	ds_read_b32 v78, v7 offset:17792                           // 0000000300AC: D86C4580 4E000007
	ds_read_b32 v79, v7 offset:17856                           // 0000000300B4: D86C45C0 4F000007
	v_cvt_f32_i32_e32 v200, v200                               // 0000000300BC: 7F900BC8
	v_cvt_f32_i32_e32 v201, v201                               // 0000000300C0: 7F920BC9
	v_cvt_f32_i32_e32 v202, v202                               // 0000000300C4: 7F940BCA
	v_cvt_f32_i32_e32 v203, v203                               // 0000000300C8: 7F960BCB
	v_cvt_f32_i32_e32 v204, v204                               // 0000000300CC: 7F980BCC
	v_cvt_f32_i32_e32 v205, v205                               // 0000000300D0: 7F9A0BCD
	v_cvt_f32_i32_e32 v206, v206                               // 0000000300D4: 7F9C0BCE
	v_cvt_f32_i32_e32 v207, v207                               // 0000000300D8: 7F9E0BCF
	v_mul_f32_e32 v200, v47, v200                              // 0000000300DC: 0B91912F
	v_mul_f32_e32 v201, v47, v201                              // 0000000300E0: 0B93932F
	v_mul_f32_e32 v202, v47, v202                              // 0000000300E4: 0B95952F
	v_mul_f32_e32 v203, v47, v203                              // 0000000300E8: 0B97972F
	v_mul_f32_e32 v204, v47, v204                              // 0000000300EC: 0B99992F
	v_mul_f32_e32 v205, v47, v205                              // 0000000300F0: 0B9B9B2F
	v_mul_f32_e32 v206, v47, v206                              // 0000000300F4: 0B9D9D2F
	v_mul_f32_e32 v207, v47, v207                              // 0000000300F8: 0B9F9F2F
	s_waitcnt lgkmcnt(0)                                       // 0000000300FC: BF8CC07F
	v_max3_f32 v48, v64, v65, v48                              // 000000030100: D1D30030 04C28340
	v_max3_f32 v48, v66, v67, v48                              // 000000030108: D1D30030 04C28742
	v_max3_f32 v48, v68, v69, v48                              // 000000030110: D1D30030 04C28B44
	v_max3_f32 v48, v70, v71, v48                              // 000000030118: D1D30030 04C28F46
	v_max3_f32 v48, v72, v73, v48                              // 000000030120: D1D30030 04C29348
	v_max3_f32 v48, v74, v75, v48                              // 000000030128: D1D30030 04C2974A
	v_max3_f32 v48, v76, v77, v48                              // 000000030130: D1D30030 04C29B4C
	v_max3_f32 v48, v78, v79, v48                              // 000000030138: D1D30030 04C29F4E
	v_mov_b32_e32 v64, 0xff800000                              // 000000030140: 7E8002FF FF800000
	v_cmp_eq_u32_e64 s[40:41], v64, v14                        // 000000030148: D0CA0028 00021D40
	s_nop 1                                                    // 000000030150: BF800001
	v_max_f32_e32 v15, v48, v14                                // 000000030154: 161E1D30
	v_mul_f32_e32 v53, s64, v15                                // 000000030158: 0A6A1E40
	v_fma_f32 v160, v160, s64, -v53                            // 00000003015C: D1CB00A0 84D481A0
	v_fma_f32 v161, v161, s64, -v53                            // 000000030164: D1CB00A1 84D481A1
	v_fma_f32 v162, v162, s64, -v53                            // 00000003016C: D1CB00A2 84D481A2
	v_fma_f32 v163, v163, s64, -v53                            // 000000030174: D1CB00A3 84D481A3
	v_fma_f32 v164, v164, s64, -v53                            // 00000003017C: D1CB00A4 84D481A4
	v_fma_f32 v165, v165, s64, -v53                            // 000000030184: D1CB00A5 84D481A5
	v_fma_f32 v166, v166, s64, -v53                            // 00000003018C: D1CB00A6 84D481A6
	v_fma_f32 v167, v167, s64, -v53                            // 000000030194: D1CB00A7 84D481A7
	v_fma_f32 v168, v168, s64, -v53                            // 00000003019C: D1CB00A8 84D481A8
	v_fma_f32 v169, v169, s64, -v53                            // 0000000301A4: D1CB00A9 84D481A9
	v_fma_f32 v170, v170, s64, -v53                            // 0000000301AC: D1CB00AA 84D481AA
	v_fma_f32 v171, v171, s64, -v53                            // 0000000301B4: D1CB00AB 84D481AB
	v_fma_f32 v172, v172, s64, -v53                            // 0000000301BC: D1CB00AC 84D481AC
	v_fma_f32 v173, v173, s64, -v53                            // 0000000301C4: D1CB00AD 84D481AD
	v_fma_f32 v174, v174, s64, -v53                            // 0000000301CC: D1CB00AE 84D481AE
	v_fma_f32 v175, v175, s64, -v53                            // 0000000301D4: D1CB00AF 84D481AF
	v_exp_f32_e32 v160, v160                                   // 0000000301DC: 7F4041A0
	v_exp_f32_e32 v161, v161                                   // 0000000301E0: 7F4241A1
	v_exp_f32_e32 v162, v162                                   // 0000000301E4: 7F4441A2
	v_exp_f32_e32 v163, v163                                   // 0000000301E8: 7F4641A3
	v_exp_f32_e32 v164, v164                                   // 0000000301EC: 7F4841A4
	v_exp_f32_e32 v165, v165                                   // 0000000301F0: 7F4A41A5
	v_exp_f32_e32 v166, v166                                   // 0000000301F4: 7F4C41A6
	v_exp_f32_e32 v167, v167                                   // 0000000301F8: 7F4E41A7
	v_exp_f32_e32 v168, v168                                   // 0000000301FC: 7F5041A8
	v_exp_f32_e32 v169, v169                                   // 000000030200: 7F5241A9
	v_exp_f32_e32 v170, v170                                   // 000000030204: 7F5441AA
	v_exp_f32_e32 v171, v171                                   // 000000030208: 7F5641AB
	v_exp_f32_e32 v172, v172                                   // 00000003020C: 7F5841AC
	v_exp_f32_e32 v173, v173                                   // 000000030210: 7F5A41AD
	v_exp_f32_e32 v174, v174                                   // 000000030214: 7F5C41AE
	v_exp_f32_e32 v175, v175                                   // 000000030218: 7F5E41AF
	v_mul_f32_dpp v240, v252, v160 quad_perm:[0,0,0,0] row_mask:0xf bank_mask:0xf// 00000003021C: 0BE140FA FF0000FC
	v_mul_f32_dpp v241, v252, v161 quad_perm:[1,1,1,1] row_mask:0xf bank_mask:0xf// 000000030224: 0BE342FA FF0055FC
	v_mul_f32_dpp v242, v252, v162 quad_perm:[2,2,2,2] row_mask:0xf bank_mask:0xf// 00000003022C: 0BE544FA FF00AAFC
	v_mul_f32_dpp v243, v252, v163 quad_perm:[3,3,3,3] row_mask:0xf bank_mask:0xf// 000000030234: 0BE746FA FF00FFFC
	v_mul_f32_dpp v244, v253, v164 quad_perm:[0,0,0,0] row_mask:0xf bank_mask:0xf// 00000003023C: 0BE948FA FF0000FD
	v_mul_f32_dpp v245, v253, v165 quad_perm:[1,1,1,1] row_mask:0xf bank_mask:0xf// 000000030244: 0BEB4AFA FF0055FD
	v_mul_f32_dpp v246, v253, v166 quad_perm:[2,2,2,2] row_mask:0xf bank_mask:0xf// 00000003024C: 0BED4CFA FF00AAFD
	v_mul_f32_dpp v247, v253, v167 quad_perm:[3,3,3,3] row_mask:0xf bank_mask:0xf// 000000030254: 0BEF4EFA FF00FFFD
	v_mul_f32_dpp v248, v254, v168 quad_perm:[0,0,0,0] row_mask:0xf bank_mask:0xf// 00000003025C: 0BF150FA FF0000FE
	v_mul_f32_dpp v249, v254, v169 quad_perm:[1,1,1,1] row_mask:0xf bank_mask:0xf// 000000030264: 0BF352FA FF0055FE
	v_mul_f32_dpp v250, v254, v170 quad_perm:[2,2,2,2] row_mask:0xf bank_mask:0xf// 00000003026C: 0BF554FA FF00AAFE
	v_mul_f32_dpp v251, v254, v171 quad_perm:[3,3,3,3] row_mask:0xf bank_mask:0xf// 000000030274: 0BF756FA FF00FFFE
	v_mul_f32_dpp v252, v255, v172 quad_perm:[0,0,0,0] row_mask:0xf bank_mask:0xf// 00000003027C: 0BF958FA FF0000FF
	v_mul_f32_dpp v253, v255, v173 quad_perm:[1,1,1,1] row_mask:0xf bank_mask:0xf// 000000030284: 0BFB5AFA FF0055FF
	v_mul_f32_dpp v254, v255, v174 quad_perm:[2,2,2,2] row_mask:0xf bank_mask:0xf// 00000003028C: 0BFD5CFA FF00AAFF
	v_mul_f32_dpp v255, v255, v175 quad_perm:[3,3,3,3] row_mask:0xf bank_mask:0xf// 000000030294: 0BFF5EFA FF00FFFF
	v_mov_b32_e32 v48, 0x358637bd                              // 00000003029C: 7E6002FF 358637BD
	v_max3_f32 v48, |v240|, |v241|, v48                        // 0000000302A4: D1D30330 04C3E3F0
	v_max3_f32 v48, |v242|, |v243|, v48                        // 0000000302AC: D1D30330 04C3E7F2
	v_max3_f32 v48, |v244|, |v245|, v48                        // 0000000302B4: D1D30330 04C3EBF4
	v_max3_f32 v48, |v246|, |v247|, v48                        // 0000000302BC: D1D30330 04C3EFF6
	v_max3_f32 v48, |v248|, |v249|, v48                        // 0000000302C4: D1D30330 04C3F3F8
	v_max3_f32 v48, |v250|, |v251|, v48                        // 0000000302CC: D1D30330 04C3F7FA
	v_max3_f32 v48, |v252|, |v253|, v48                        // 0000000302D4: D1D30330 04C3FBFC
	v_max3_f32 v48, |v254|, |v255|, v48                        // 0000000302DC: D1D30330 04C3FFFE
	ds_write_b32 v8, v48 offset:20992                          // 0000000302E4: D81A5200 00003008
	v_sub_f32_e32 v52, v14, v15                                // 0000000302EC: 04681F0E
	v_cndmask_b32_e64 v52, v52, 0, s[40:41]                    // 0000000302F0: D1000034 00A10134
	v_mov_b32_e32 v14, v15                                     // 0000000302F8: 7E1C030F
	v_mul_f32_e32 v52, s64, v52                                // 0000000302FC: 0A686840
	v_exp_f32_e32 v52, v52                                     // 000000030300: 7E684134
	s_waitcnt lgkmcnt(0)                                       // 000000030304: BF8CC07F
	s_barrier                                                  // 000000030308: BF8A0000
	ds_read_b32 v64, v7 offset:20992                           // 00000003030C: D86C5200 40000007
	ds_read_b32 v65, v7 offset:21056                           // 000000030314: D86C5240 41000007
	ds_read_b32 v66, v7 offset:21120                           // 00000003031C: D86C5280 42000007
	ds_read_b32 v67, v7 offset:21184                           // 000000030324: D86C52C0 43000007
	ds_read_b32 v68, v7 offset:21248                           // 00000003032C: D86C5300 44000007
	ds_read_b32 v69, v7 offset:21312                           // 000000030334: D86C5340 45000007
	ds_read_b32 v70, v7 offset:21376                           // 00000003033C: D86C5380 46000007
	ds_read_b32 v71, v7 offset:21440                           // 000000030344: D86C53C0 47000007
	ds_read_b32 v72, v7 offset:21504                           // 00000003034C: D86C5400 48000007
	ds_read_b32 v73, v7 offset:21568                           // 000000030354: D86C5440 49000007
	ds_read_b32 v74, v7 offset:21632                           // 00000003035C: D86C5480 4A000007
	ds_read_b32 v75, v7 offset:21696                           // 000000030364: D86C54C0 4B000007
	ds_read_b32 v76, v7 offset:21760                           // 00000003036C: D86C5500 4C000007
	ds_read_b32 v77, v7 offset:21824                           // 000000030374: D86C5540 4D000007
	ds_read_b32 v78, v7 offset:21888                           // 00000003037C: D86C5580 4E000007
	ds_read_b32 v79, v7 offset:21952                           // 000000030384: D86C55C0 4F000007
	v_mul_f32_e32 v41, v52, v41                                // 00000003038C: 0A525334
	v_mov_b32_e32 v15, v160                                    // 000000030390: 7E1E03A0
	v_add_f32_e32 v15, v161, v15                               // 000000030394: 021E1FA1
	v_add_f32_e32 v15, v162, v15                               // 000000030398: 021E1FA2
	v_add_f32_e32 v15, v163, v15                               // 00000003039C: 021E1FA3
	v_add_f32_e32 v15, v164, v15                               // 0000000303A0: 021E1FA4
	v_add_f32_e32 v15, v165, v15                               // 0000000303A4: 021E1FA5
	v_add_f32_e32 v15, v166, v15                               // 0000000303A8: 021E1FA6
	v_add_f32_e32 v15, v167, v15                               // 0000000303AC: 021E1FA7
	v_add_f32_e32 v15, v168, v15                               // 0000000303B0: 021E1FA8
	v_add_f32_e32 v15, v169, v15                               // 0000000303B4: 021E1FA9
	v_add_f32_e32 v15, v170, v15                               // 0000000303B8: 021E1FAA
	v_add_f32_e32 v15, v171, v15                               // 0000000303BC: 021E1FAB
	v_add_f32_e32 v15, v172, v15                               // 0000000303C0: 021E1FAC
	v_add_f32_e32 v15, v173, v15                               // 0000000303C4: 021E1FAD
	v_add_f32_e32 v15, v174, v15                               // 0000000303C8: 021E1FAE
	v_add_f32_e32 v15, v175, v15                               // 0000000303CC: 021E1FAF
	v_add_f32_e32 v41, v15, v41                                // 0000000303D0: 0252530F
	s_waitcnt lgkmcnt(0)                                       // 0000000303D4: BF8CC07F
	v_max3_f32 v48, |v64|, |v65|, v48                          // 0000000303D8: D1D30330 04C28340
	v_max3_f32 v48, |v66|, |v67|, v48                          // 0000000303E0: D1D30330 04C28742
	v_max3_f32 v48, |v68|, |v69|, v48                          // 0000000303E8: D1D30330 04C28B44
	v_max3_f32 v48, |v70|, |v71|, v48                          // 0000000303F0: D1D30330 04C28F46
	v_max3_f32 v48, |v72|, |v73|, v48                          // 0000000303F8: D1D30330 04C29348
	v_max3_f32 v48, |v74|, |v75|, v48                          // 000000030400: D1D30330 04C2974A
	v_max3_f32 v48, |v76|, |v77|, v48                          // 000000030408: D1D30330 04C29B4C
	v_max3_f32 v48, |v78|, |v79|, v48                          // 000000030410: D1D30330 04C29F4E
	s_nop 2                                                    // 000000030418: BF800002
	v_rcp_f32_e32 v48, v48                                     // 00000003041C: 7E604530
	s_nop 1                                                    // 000000030420: BF800001
	v_mul_f32_e32 v48, 0x42fe0000, v48                         // 000000030424: 0A6060FF 42FE0000
	v_mul_f32_e32 v160, v48, v240                              // 00000003042C: 0B41E130
	v_mul_f32_e32 v161, v48, v241                              // 000000030430: 0B43E330
	v_mul_f32_e32 v162, v48, v242                              // 000000030434: 0B45E530
	v_mul_f32_e32 v163, v48, v243                              // 000000030438: 0B47E730
	v_mul_f32_e32 v164, v48, v244                              // 00000003043C: 0B49E930
	v_mul_f32_e32 v165, v48, v245                              // 000000030440: 0B4BEB30
	v_mul_f32_e32 v166, v48, v246                              // 000000030444: 0B4DED30
	v_mul_f32_e32 v167, v48, v247                              // 000000030448: 0B4FEF30
	v_mul_f32_e32 v168, v48, v248                              // 00000003044C: 0B51F130
	v_mul_f32_e32 v169, v48, v249                              // 000000030450: 0B53F330
	v_mul_f32_e32 v170, v48, v250                              // 000000030454: 0B55F530
	v_mul_f32_e32 v171, v48, v251                              // 000000030458: 0B57F730
	v_mul_f32_e32 v172, v48, v252                              // 00000003045C: 0B59F930
	v_mul_f32_e32 v173, v48, v253                              // 000000030460: 0B5BFB30
	v_mul_f32_e32 v174, v48, v254                              // 000000030464: 0B5DFD30
	v_mul_f32_e32 v175, v48, v255                              // 000000030468: 0B5FFF30
	v_cvt_i32_f32_e32 v160, v160                               // 00000003046C: 7F4011A0
	v_cvt_i32_f32_e32 v161, v161                               // 000000030470: 7F4211A1
	v_cvt_i32_f32_e32 v162, v162                               // 000000030474: 7F4411A2
	v_cvt_i32_f32_e32 v163, v163                               // 000000030478: 7F4611A3
	v_cvt_i32_f32_e32 v164, v164                               // 00000003047C: 7F4811A4
	v_cvt_i32_f32_e32 v165, v165                               // 000000030480: 7F4A11A5
	v_cvt_i32_f32_e32 v166, v166                               // 000000030484: 7F4C11A6
	v_cvt_i32_f32_e32 v167, v167                               // 000000030488: 7F4E11A7
	v_cvt_i32_f32_e32 v168, v168                               // 00000003048C: 7F5011A8
	v_cvt_i32_f32_e32 v169, v169                               // 000000030490: 7F5211A9
	v_cvt_i32_f32_e32 v170, v170                               // 000000030494: 7F5411AA
	v_cvt_i32_f32_e32 v171, v171                               // 000000030498: 7F5611AB
	v_cvt_i32_f32_e32 v172, v172                               // 00000003049C: 7F5811AC
	v_cvt_i32_f32_e32 v173, v173                               // 0000000304A0: 7F5A11AD
	v_cvt_i32_f32_e32 v174, v174                               // 0000000304A4: 7F5C11AE
	v_cvt_i32_f32_e32 v175, v175                               // 0000000304A8: 7F5E11AF
	v_perm_b32 v160, v161, v160, s53                           // 0000000304AC: D1ED00A0 00D741A1
	v_perm_b32 v160, v162, v160, s54                           // 0000000304B4: D1ED00A0 00DB41A2
	v_perm_b32 v160, v163, v160, s55                           // 0000000304BC: D1ED00A0 00DF41A3
	v_perm_b32 v161, v165, v164, s53                           // 0000000304C4: D1ED00A1 00D749A5
	v_perm_b32 v161, v166, v161, s54                           // 0000000304CC: D1ED00A1 00DB43A6
	v_perm_b32 v161, v167, v161, s55                           // 0000000304D4: D1ED00A1 00DF43A7
	v_perm_b32 v162, v169, v168, s53                           // 0000000304DC: D1ED00A2 00D751A9
	v_perm_b32 v162, v170, v162, s54                           // 0000000304E4: D1ED00A2 00DB45AA
	v_perm_b32 v162, v171, v162, s55                           // 0000000304EC: D1ED00A2 00DF45AB
	v_perm_b32 v163, v173, v172, s53                           // 0000000304F4: D1ED00A3 00D759AD
	v_perm_b32 v163, v174, v163, s54                           // 0000000304FC: D1ED00A3 00DB47AE
	v_perm_b32 v163, v175, v163, s55                           // 000000030504: D1ED00A3 00DF47AF
	ds_write_b32 v10, v160 offset:37376                        // 00000003050C: D81A9200 0000A00A
	ds_write_b32 v10, v161 offset:38400                        // 000000030514: D81A9600 0000A10A
	ds_write_b32 v10, v162 offset:39424                        // 00000003051C: D81A9A00 0000A20A
	ds_write_b32 v10, v163 offset:40448                        // 000000030524: D81A9E00 0000A30A
	v_add_f32_e32 v232, v232, v200                             // 00000003052C: 03D191E8
	v_add_f32_e32 v233, v233, v201                             // 000000030530: 03D393E9
	v_add_f32_e32 v234, v234, v202                             // 000000030534: 03D595EA
	v_add_f32_e32 v235, v235, v203                             // 000000030538: 03D797EB
	v_add_f32_e32 v236, v236, v204                             // 00000003053C: 03D999EC
	v_add_f32_e32 v237, v237, v205                             // 000000030540: 03DB9BED
	v_add_f32_e32 v238, v238, v206                             // 000000030544: 03DD9DEE
	v_add_f32_e32 v239, v239, v207                             // 000000030548: 03DF9FEF
	v_rcp_f32_e32 v47, v48                                     // 00000003054C: 7E5E4530
	s_waitcnt lgkmcnt(0)                                       // 000000030550: BF8CC07F
	s_barrier                                                  // 000000030554: BF8A0000
	ds_read_b64 v[160:161], v9 offset:37376                    // 000000030558: D8EC9200 A0000009
	ds_read_b64 v[162:163], v9 offset:37504                    // 000000030560: D8EC9280 A2000009
	ds_read_b64 v[164:165], v9 offset:38400                    // 000000030568: D8EC9600 A4000009
	ds_read_b64 v[166:167], v9 offset:38528                    // 000000030570: D8EC9680 A6000009
	ds_read_b64 v[168:169], v9 offset:39424                    // 000000030578: D8EC9A00 A8000009
	ds_read_b64 v[170:171], v9 offset:39552                    // 000000030580: D8EC9A80 AA000009
	ds_read_b64 v[172:173], v9 offset:40448                    // 000000030588: D8EC9E00 AC000009
	ds_read_b64 v[174:175], v9 offset:40576                    // 000000030590: D8EC9E80 AE000009
	s_waitcnt vmcnt(0)                                         // 000000030598: BF8C0F70
	s_barrier                                                  // 00000003059C: BF8A0000
	v_mfma_i32_16x16x32_i8 v[176:179], a[96:97], v[112:113], 0 // 0000000305A0: D3D700B0 0A02E160
	v_mfma_i32_16x16x32_i8 v[176:179], a[98:99], v[114:115], v[176:179]// 0000000305A8: D3D700B0 0EC2E562
	v_mfma_i32_16x16x32_i8 v[176:179], a[100:101], v[116:117], v[176:179]// 0000000305B0: D3D700B0 0EC2E964
	v_mfma_i32_16x16x32_i8 v[176:179], a[102:103], v[118:119], v[176:179]// 0000000305B8: D3D700B0 0EC2ED66
	v_mfma_i32_16x16x32_i8 v[176:179], a[104:105], v[120:121], v[176:179]// 0000000305C0: D3D700B0 0EC2F168
	v_mfma_i32_16x16x32_i8 v[176:179], a[106:107], v[122:123], v[176:179]// 0000000305C8: D3D700B0 0EC2F56A
	v_mfma_i32_16x16x32_i8 v[176:179], a[108:109], v[124:125], v[176:179]// 0000000305D0: D3D700B0 0EC2F96C
	v_mfma_i32_16x16x32_i8 v[176:179], a[110:111], v[126:127], v[176:179]// 0000000305D8: D3D700B0 0EC2FD6E
	v_mfma_i32_16x16x32_i8 v[180:183], a[112:113], v[112:113], 0// 0000000305E0: D3D700B4 0A02E170
	v_mfma_i32_16x16x32_i8 v[180:183], a[114:115], v[114:115], v[180:183]// 0000000305E8: D3D700B4 0ED2E572
	v_mfma_i32_16x16x32_i8 v[180:183], a[116:117], v[116:117], v[180:183]// 0000000305F0: D3D700B4 0ED2E974
	v_mfma_i32_16x16x32_i8 v[180:183], a[118:119], v[118:119], v[180:183]// 0000000305F8: D3D700B4 0ED2ED76
	v_mfma_i32_16x16x32_i8 v[180:183], a[120:121], v[120:121], v[180:183]// 000000030600: D3D700B4 0ED2F178
	v_mfma_i32_16x16x32_i8 v[180:183], a[122:123], v[122:123], v[180:183]// 000000030608: D3D700B4 0ED2F57A
	v_mfma_i32_16x16x32_i8 v[180:183], a[124:125], v[124:125], v[180:183]// 000000030610: D3D700B4 0ED2F97C
	v_mfma_i32_16x16x32_i8 v[180:183], a[126:127], v[126:127], v[180:183]// 000000030618: D3D700B4 0ED2FD7E
	v_mfma_i32_16x16x32_i8 v[184:187], a[96:97], v[128:129], 0 // 000000030620: D3D700B8 0A030160
	v_mfma_i32_16x16x32_i8 v[184:187], a[98:99], v[130:131], v[184:187]// 000000030628: D3D700B8 0EE30562
	v_mfma_i32_16x16x32_i8 v[184:187], a[100:101], v[132:133], v[184:187]// 000000030630: D3D700B8 0EE30964
	v_mfma_i32_16x16x32_i8 v[184:187], a[102:103], v[134:135], v[184:187]// 000000030638: D3D700B8 0EE30D66
	v_mfma_i32_16x16x32_i8 v[184:187], a[104:105], v[136:137], v[184:187]// 000000030640: D3D700B8 0EE31168
	v_mfma_i32_16x16x32_i8 v[184:187], a[106:107], v[138:139], v[184:187]// 000000030648: D3D700B8 0EE3156A
	v_mfma_i32_16x16x32_i8 v[184:187], a[108:109], v[140:141], v[184:187]// 000000030650: D3D700B8 0EE3196C
	v_mfma_i32_16x16x32_i8 v[184:187], a[110:111], v[142:143], v[184:187]// 000000030658: D3D700B8 0EE31D6E
	v_mfma_i32_16x16x32_i8 v[188:191], a[112:113], v[128:129], 0// 000000030660: D3D700BC 0A030170
	v_mfma_i32_16x16x32_i8 v[188:191], a[114:115], v[130:131], v[188:191]// 000000030668: D3D700BC 0EF30572
	v_mfma_i32_16x16x32_i8 v[188:191], a[116:117], v[132:133], v[188:191]// 000000030670: D3D700BC 0EF30974
	v_mfma_i32_16x16x32_i8 v[188:191], a[118:119], v[134:135], v[188:191]// 000000030678: D3D700BC 0EF30D76
	v_mfma_i32_16x16x32_i8 v[188:191], a[120:121], v[136:137], v[188:191]// 000000030680: D3D700BC 0EF31178
	v_mfma_i32_16x16x32_i8 v[188:191], a[122:123], v[138:139], v[188:191]// 000000030688: D3D700BC 0EF3157A
	v_mfma_i32_16x16x32_i8 v[188:191], a[124:125], v[140:141], v[188:191]// 000000030690: D3D700BC 0EF3197C
	v_mfma_i32_16x16x32_i8 v[188:191], a[126:127], v[142:143], v[188:191]// 000000030698: D3D700BC 0EF31D7E
	v_mfma_i32_16x16x32_i8 v[192:195], a[96:97], v[144:145], 0 // 0000000306A0: D3D700C0 0A032160
	v_mfma_i32_16x16x32_i8 v[192:195], a[98:99], v[146:147], v[192:195]// 0000000306A8: D3D700C0 0F032562
	v_mfma_i32_16x16x32_i8 v[192:195], a[100:101], v[148:149], v[192:195]// 0000000306B0: D3D700C0 0F032964
	v_mfma_i32_16x16x32_i8 v[192:195], a[102:103], v[150:151], v[192:195]// 0000000306B8: D3D700C0 0F032D66
	v_mfma_i32_16x16x32_i8 v[192:195], a[104:105], v[152:153], v[192:195]// 0000000306C0: D3D700C0 0F033168
	v_mfma_i32_16x16x32_i8 v[192:195], a[106:107], v[154:155], v[192:195]// 0000000306C8: D3D700C0 0F03356A
	v_mfma_i32_16x16x32_i8 v[192:195], a[108:109], v[156:157], v[192:195]// 0000000306D0: D3D700C0 0F03396C
	v_mfma_i32_16x16x32_i8 v[192:195], a[110:111], v[158:159], v[192:195]// 0000000306D8: D3D700C0 0F033D6E
	v_mfma_i32_16x16x32_i8 v[196:199], a[112:113], v[144:145], 0// 0000000306E0: D3D700C4 0A032170
	v_mfma_i32_16x16x32_i8 v[196:199], a[114:115], v[146:147], v[196:199]// 0000000306E8: D3D700C4 0F132572
	v_mfma_i32_16x16x32_i8 v[196:199], a[116:117], v[148:149], v[196:199]// 0000000306F0: D3D700C4 0F132974
	v_mfma_i32_16x16x32_i8 v[196:199], a[118:119], v[150:151], v[196:199]// 0000000306F8: D3D700C4 0F132D76
	v_mfma_i32_16x16x32_i8 v[196:199], a[120:121], v[152:153], v[196:199]// 000000030700: D3D700C4 0F133178
	v_mfma_i32_16x16x32_i8 v[196:199], a[122:123], v[154:155], v[196:199]// 000000030708: D3D700C4 0F13357A
	v_mfma_i32_16x16x32_i8 v[196:199], a[124:125], v[156:157], v[196:199]// 000000030710: D3D700C4 0F13397C
	v_mfma_i32_16x16x32_i8 v[196:199], a[126:127], v[158:159], v[196:199]// 000000030718: D3D700C4 0F133D7E
	v_mfma_i32_16x16x32_i8 v[200:203], a[96:97], v[160:161], 0 // 000000030720: D3D700C8 0A034160
	v_mfma_i32_16x16x32_i8 v[200:203], a[98:99], v[162:163], v[200:203]// 000000030728: D3D700C8 0F234562
	v_mfma_i32_16x16x32_i8 v[200:203], a[100:101], v[164:165], v[200:203]// 000000030730: D3D700C8 0F234964
	v_mfma_i32_16x16x32_i8 v[200:203], a[102:103], v[166:167], v[200:203]// 000000030738: D3D700C8 0F234D66
	v_mfma_i32_16x16x32_i8 v[200:203], a[104:105], v[168:169], v[200:203]// 000000030740: D3D700C8 0F235168
	v_mfma_i32_16x16x32_i8 v[200:203], a[106:107], v[170:171], v[200:203]// 000000030748: D3D700C8 0F23556A
	v_mfma_i32_16x16x32_i8 v[200:203], a[108:109], v[172:173], v[200:203]// 000000030750: D3D700C8 0F23596C
	v_mfma_i32_16x16x32_i8 v[200:203], a[110:111], v[174:175], v[200:203]// 000000030758: D3D700C8 0F235D6E
	v_mfma_i32_16x16x32_i8 v[204:207], a[112:113], v[160:161], 0// 000000030760: D3D700CC 0A034170
	v_mfma_i32_16x16x32_i8 v[204:207], a[114:115], v[162:163], v[204:207]// 000000030768: D3D700CC 0F334572
	v_mfma_i32_16x16x32_i8 v[204:207], a[116:117], v[164:165], v[204:207]// 000000030770: D3D700CC 0F334974
	v_mfma_i32_16x16x32_i8 v[204:207], a[118:119], v[166:167], v[204:207]// 000000030778: D3D700CC 0F334D76
	v_mfma_i32_16x16x32_i8 v[204:207], a[120:121], v[168:169], v[204:207]// 000000030780: D3D700CC 0F335178
	v_mfma_i32_16x16x32_i8 v[204:207], a[122:123], v[170:171], v[204:207]// 000000030788: D3D700CC 0F33557A
	v_mfma_i32_16x16x32_i8 v[204:207], a[124:125], v[172:173], v[204:207]// 000000030790: D3D700CC 0F33597C
	v_mfma_i32_16x16x32_i8 v[204:207], a[126:127], v[174:175], v[204:207]// 000000030798: D3D700CC 0F335D7E
	s_nop 4                                                    // 0000000307A0: BF800004
	s_branch label_B96A                                        // 0000000307A4: BF820000

00000000000307a8 <label_B96A>:
	v_mul_f32_e32 v208, v49, v208                              // 0000000307A8: 0BA1A131
	v_mul_f32_e32 v209, v49, v209                              // 0000000307AC: 0BA3A331
	v_mul_f32_e32 v210, v49, v210                              // 0000000307B0: 0BA5A531
	v_mul_f32_e32 v211, v49, v211                              // 0000000307B4: 0BA7A731
	v_mul_f32_e32 v212, v49, v212                              // 0000000307B8: 0BA9A931
	v_mul_f32_e32 v213, v49, v213                              // 0000000307BC: 0BABAB31
	v_mul_f32_e32 v214, v49, v214                              // 0000000307C0: 0BADAD31
	v_mul_f32_e32 v215, v49, v215                              // 0000000307C4: 0BAFAF31
	v_cvt_f32_i32_e32 v176, v176                               // 0000000307C8: 7F600BB0
	v_cvt_f32_i32_e32 v177, v177                               // 0000000307CC: 7F620BB1
	v_cvt_f32_i32_e32 v178, v178                               // 0000000307D0: 7F640BB2
	v_cvt_f32_i32_e32 v179, v179                               // 0000000307D4: 7F660BB3
	v_cvt_f32_i32_e32 v180, v180                               // 0000000307D8: 7F680BB4
	v_cvt_f32_i32_e32 v181, v181                               // 0000000307DC: 7F6A0BB5
	v_cvt_f32_i32_e32 v182, v182                               // 0000000307E0: 7F6C0BB6
	v_cvt_f32_i32_e32 v183, v183                               // 0000000307E4: 7F6E0BB7
	v_mul_f32_e32 v176, v44, v176                              // 0000000307E8: 0B61612C
	v_mul_f32_e32 v177, v44, v177                              // 0000000307EC: 0B63632C
	v_mul_f32_e32 v178, v44, v178                              // 0000000307F0: 0B65652C
	v_mul_f32_e32 v179, v44, v179                              // 0000000307F4: 0B67672C
	v_mul_f32_e32 v180, v44, v180                              // 0000000307F8: 0B69692C
	v_mul_f32_e32 v181, v44, v181                              // 0000000307FC: 0B6B6B2C
	v_mul_f32_e32 v182, v44, v182                              // 000000030800: 0B6D6D2C
	v_mul_f32_e32 v183, v44, v183                              // 000000030804: 0B6F6F2C
	v_add_f32_e32 v208, v208, v176                             // 000000030808: 03A161D0
	v_add_f32_e32 v209, v209, v177                             // 00000003080C: 03A363D1
	v_add_f32_e32 v210, v210, v178                             // 000000030810: 03A565D2
	v_add_f32_e32 v211, v211, v179                             // 000000030814: 03A767D3
	v_add_f32_e32 v212, v212, v180                             // 000000030818: 03A969D4
	v_add_f32_e32 v213, v213, v181                             // 00000003081C: 03AB6BD5
	v_add_f32_e32 v214, v214, v182                             // 000000030820: 03AD6DD6
	v_add_f32_e32 v215, v215, v183                             // 000000030824: 03AF6FD7
	ds_write_b32 v8, v38 offset:16896                          // 000000030828: D81A4200 00002608
	s_waitcnt lgkmcnt(0)                                       // 000000030830: BF8CC07F
	s_barrier                                                  // 000000030834: BF8A0000
	ds_read_b32 v64, v7 offset:16896                           // 000000030838: D86C4200 40000007
	ds_read_b32 v65, v7 offset:16960                           // 000000030840: D86C4240 41000007
	ds_read_b32 v66, v7 offset:17024                           // 000000030848: D86C4280 42000007
	ds_read_b32 v67, v7 offset:17088                           // 000000030850: D86C42C0 43000007
	ds_read_b32 v68, v7 offset:17152                           // 000000030858: D86C4300 44000007
	ds_read_b32 v69, v7 offset:17216                           // 000000030860: D86C4340 45000007
	ds_read_b32 v70, v7 offset:17280                           // 000000030868: D86C4380 46000007
	ds_read_b32 v71, v7 offset:17344                           // 000000030870: D86C43C0 47000007
	ds_read_b32 v72, v7 offset:17408                           // 000000030878: D86C4400 48000007
	ds_read_b32 v73, v7 offset:17472                           // 000000030880: D86C4440 49000007
	ds_read_b32 v74, v7 offset:17536                           // 000000030888: D86C4480 4A000007
	ds_read_b32 v75, v7 offset:17600                           // 000000030890: D86C44C0 4B000007
	ds_read_b32 v76, v7 offset:17664                           // 000000030898: D86C4500 4C000007
	ds_read_b32 v77, v7 offset:17728                           // 0000000308A0: D86C4540 4D000007
	ds_read_b32 v78, v7 offset:17792                           // 0000000308A8: D86C4580 4E000007
	ds_read_b32 v79, v7 offset:17856                           // 0000000308B0: D86C45C0 4F000007
	s_waitcnt lgkmcnt(0)                                       // 0000000308B8: BF8CC07F
	v_mov_b32_e32 v38, 0                                       // 0000000308BC: 7E4C0280
	v_add_f32_e32 v38, v64, v38                                // 0000000308C0: 024C4D40
	v_add_f32_e32 v38, v65, v38                                // 0000000308C4: 024C4D41
	v_add_f32_e32 v38, v66, v38                                // 0000000308C8: 024C4D42
	v_add_f32_e32 v38, v67, v38                                // 0000000308CC: 024C4D43
	v_add_f32_e32 v38, v68, v38                                // 0000000308D0: 024C4D44
	v_add_f32_e32 v38, v69, v38                                // 0000000308D4: 024C4D45
	v_add_f32_e32 v38, v70, v38                                // 0000000308D8: 024C4D46
	v_add_f32_e32 v38, v71, v38                                // 0000000308DC: 024C4D47
	v_add_f32_e32 v38, v72, v38                                // 0000000308E0: 024C4D48
	v_add_f32_e32 v38, v73, v38                                // 0000000308E4: 024C4D49
	v_add_f32_e32 v38, v74, v38                                // 0000000308E8: 024C4D4A
	v_add_f32_e32 v38, v75, v38                                // 0000000308EC: 024C4D4B
	v_add_f32_e32 v38, v76, v38                                // 0000000308F0: 024C4D4C
	v_add_f32_e32 v38, v77, v38                                // 0000000308F4: 024C4D4D
	v_add_f32_e32 v38, v78, v38                                // 0000000308F8: 024C4D4E
	v_add_f32_e32 v38, v79, v38                                // 0000000308FC: 024C4D4F
	s_nop 1                                                    // 000000030900: BF800001
	v_rcp_f32_e32 v38, v38                                     // 000000030904: 7E4C4526
	s_nop 1                                                    // 000000030908: BF800001
	v_mul_f32_e32 v208, v38, v208                              // 00000003090C: 0BA1A126
	v_mul_f32_e32 v209, v38, v209                              // 000000030910: 0BA3A326
	v_mul_f32_e32 v210, v38, v210                              // 000000030914: 0BA5A526
	v_mul_f32_e32 v211, v38, v211                              // 000000030918: 0BA7A726
	v_mul_f32_e32 v212, v38, v212                              // 00000003091C: 0BA9A926
	v_mul_f32_e32 v213, v38, v213                              // 000000030920: 0BABAB26
	v_mul_f32_e32 v214, v38, v214                              // 000000030924: 0BADAD26
	v_mul_f32_e32 v215, v38, v215                              // 000000030928: 0BAFAF26
	v_mov_b32_e32 v19, 0xffff0000                              // 00000003092C: 7E2602FF FFFF0000
	v_mov_b32_e32 v20, 0x7fff0000                              // 000000030934: 7E2802FF 7FFF0000
	v_mov_b32_e32 v21, 0x7fff                                  // 00000003093C: 7E2A02FF 00007FFF
	v_cvt_pkrtz_f16_f32 v64, v208, v209                        // 000000030944: D2960040 0003A3D0
	v_mov_b32_e32 v208, v64                                    // 00000003094C: 7FA00340
	v_cvt_pkrtz_f16_f32 v64, v210, v211                        // 000000030950: D2960040 0003A7D2
	v_mov_b32_e32 v209, v64                                    // 000000030958: 7FA20340
	v_cvt_pkrtz_f16_f32 v64, v212, v213                        // 00000003095C: D2960040 0003ABD4
	v_mov_b32_e32 v210, v64                                    // 000000030964: 7FA40340
	v_cvt_pkrtz_f16_f32 v64, v214, v215                        // 000000030968: D2960040 0003AFD6
	v_mov_b32_e32 v211, v64                                    // 000000030970: 7FA60340
	s_nop 1                                                    // 000000030974: BF800001
	v_lshrrev_b32_e32 v64, 4, v0                               // 000000030978: 20800084
	v_mul_i32_i24_e32 v68, 34, v64                             // 00000003097C: 0C8880A2
	v_and_b32_e32 v64, 15, v0                                  // 000000030980: 2680008F
	v_mul_i32_i24_e32 v65, 2, v64                              // 000000030984: 0C828082
	v_add_u32_e32 v68, v65, v68                                // 000000030988: 68888941
	s_mul_i32 s60, s7, 0x88                                    // 00000003098C: 923CFF07 00000088
	v_add_u32_e32 v68, s60, v68                                // 000000030994: 6888883C
	v_lshlrev_b32_e32 v68, 2, v68                              // 000000030998: 24888882
	ds_write_b64 v68, v[208:209] offset:41472                  // 00000003099C: D89AA200 0000D044
	ds_write_b64 v68, v[210:211] offset:43648                  // 0000000309A4: D89AAA80 0000D244
	v_lshrrev_b32_e32 v64, 1, v0                               // 0000000309AC: 20800081
	v_mul_i32_i24_e32 v68, 34, v64                             // 0000000309B0: 0C8880A2
	v_and_b32_e32 v65, 1, v0                                   // 0000000309B4: 26820081
	v_add_u32_e32 v68, v65, v68                                // 0000000309B8: 68888941
	s_mul_i32 s60, s7, 2                                       // 0000000309BC: 923C8207
	v_add_u32_e32 v68, s60, v68                                // 0000000309C0: 6888883C
	v_lshlrev_b32_e32 v68, 2, v68                              // 0000000309C4: 24888882
	s_waitcnt lgkmcnt(0)                                       // 0000000309C8: BF8CC07F
	s_barrier                                                  // 0000000309CC: BF8A0000
	ds_read_b32 v208, v68 offset:41472                         // 0000000309D0: D86CA200 D0000044
	ds_read_b32 v209, v68 offset:41504                         // 0000000309D8: D86CA220 D1000044
	ds_read_b32 v210, v68 offset:41536                         // 0000000309E0: D86CA240 D2000044
	ds_read_b32 v211, v68 offset:41568                         // 0000000309E8: D86CA260 D3000044
	s_mul_i32 s60, s7, 0x100                                   // 0000000309F0: 923CFF07 00000100
	v_lshlrev_b32_e32 v64, 2, v0                               // 0000000309F8: 24800082
	v_add_u32_e64 v64, v64, s60                                // 0000000309FC: D1340040 00007940
	s_waitcnt lgkmcnt(0)                                       // 000000030A04: BF8CC07F
	buffer_store_dword v208, v64, s[8:11], 0 offen             // 000000030A08: E0701000 8002D040
	buffer_store_dword v209, v64, s[8:11], 0 offen offset:1024 // 000000030A10: E0701400 8002D140
	buffer_store_dword v210, v64, s[8:11], 0 offen offset:2048 // 000000030A18: E0701800 8002D240
	buffer_store_dword v211, v64, s[8:11], 0 offen offset:3072 // 000000030A20: E0701C00 8002D340
	s_add_u32 s8, s75, s8                                      // 000000030A28: 8008084B
	s_addc_u32 s9, 0, s9                                       // 000000030A2C: 82090980
	v_mul_f32_e32 v216, v50, v216                              // 000000030A30: 0BB1B132
	v_mul_f32_e32 v217, v50, v217                              // 000000030A34: 0BB3B332
	v_mul_f32_e32 v218, v50, v218                              // 000000030A38: 0BB5B532
	v_mul_f32_e32 v219, v50, v219                              // 000000030A3C: 0BB7B732
	v_mul_f32_e32 v220, v50, v220                              // 000000030A40: 0BB9B932
	v_mul_f32_e32 v221, v50, v221                              // 000000030A44: 0BBBBB32
	v_mul_f32_e32 v222, v50, v222                              // 000000030A48: 0BBDBD32
	v_mul_f32_e32 v223, v50, v223                              // 000000030A4C: 0BBFBF32
	v_cvt_f32_i32_e32 v184, v184                               // 000000030A50: 7F700BB8
	v_cvt_f32_i32_e32 v185, v185                               // 000000030A54: 7F720BB9
	v_cvt_f32_i32_e32 v186, v186                               // 000000030A58: 7F740BBA
	v_cvt_f32_i32_e32 v187, v187                               // 000000030A5C: 7F760BBB
	v_cvt_f32_i32_e32 v188, v188                               // 000000030A60: 7F780BBC
	v_cvt_f32_i32_e32 v189, v189                               // 000000030A64: 7F7A0BBD
	v_cvt_f32_i32_e32 v190, v190                               // 000000030A68: 7F7C0BBE
	v_cvt_f32_i32_e32 v191, v191                               // 000000030A6C: 7F7E0BBF
	v_mul_f32_e32 v184, v45, v184                              // 000000030A70: 0B71712D
	v_mul_f32_e32 v185, v45, v185                              // 000000030A74: 0B73732D
	v_mul_f32_e32 v186, v45, v186                              // 000000030A78: 0B75752D
	v_mul_f32_e32 v187, v45, v187                              // 000000030A7C: 0B77772D
	v_mul_f32_e32 v188, v45, v188                              // 000000030A80: 0B79792D
	v_mul_f32_e32 v189, v45, v189                              // 000000030A84: 0B7B7B2D
	v_mul_f32_e32 v190, v45, v190                              // 000000030A88: 0B7D7D2D
	v_mul_f32_e32 v191, v45, v191                              // 000000030A8C: 0B7F7F2D
	v_add_f32_e32 v216, v216, v184                             // 000000030A90: 03B171D8
	v_add_f32_e32 v217, v217, v185                             // 000000030A94: 03B373D9
	v_add_f32_e32 v218, v218, v186                             // 000000030A98: 03B575DA
	v_add_f32_e32 v219, v219, v187                             // 000000030A9C: 03B777DB
	v_add_f32_e32 v220, v220, v188                             // 000000030AA0: 03B979DC
	v_add_f32_e32 v221, v221, v189                             // 000000030AA4: 03BB7BDD
	v_add_f32_e32 v222, v222, v190                             // 000000030AA8: 03BD7DDE
	v_add_f32_e32 v223, v223, v191                             // 000000030AAC: 03BF7FDF
	ds_write_b32 v8, v39 offset:16896                          // 000000030AB0: D81A4200 00002708
	s_waitcnt lgkmcnt(0)                                       // 000000030AB8: BF8CC07F
	s_barrier                                                  // 000000030ABC: BF8A0000
	ds_read_b32 v64, v7 offset:16896                           // 000000030AC0: D86C4200 40000007
	ds_read_b32 v65, v7 offset:16960                           // 000000030AC8: D86C4240 41000007
	ds_read_b32 v66, v7 offset:17024                           // 000000030AD0: D86C4280 42000007
	ds_read_b32 v67, v7 offset:17088                           // 000000030AD8: D86C42C0 43000007
	ds_read_b32 v68, v7 offset:17152                           // 000000030AE0: D86C4300 44000007
	ds_read_b32 v69, v7 offset:17216                           // 000000030AE8: D86C4340 45000007
	ds_read_b32 v70, v7 offset:17280                           // 000000030AF0: D86C4380 46000007
	ds_read_b32 v71, v7 offset:17344                           // 000000030AF8: D86C43C0 47000007
	ds_read_b32 v72, v7 offset:17408                           // 000000030B00: D86C4400 48000007
	ds_read_b32 v73, v7 offset:17472                           // 000000030B08: D86C4440 49000007
	ds_read_b32 v74, v7 offset:17536                           // 000000030B10: D86C4480 4A000007
	ds_read_b32 v75, v7 offset:17600                           // 000000030B18: D86C44C0 4B000007
	ds_read_b32 v76, v7 offset:17664                           // 000000030B20: D86C4500 4C000007
	ds_read_b32 v77, v7 offset:17728                           // 000000030B28: D86C4540 4D000007
	ds_read_b32 v78, v7 offset:17792                           // 000000030B30: D86C4580 4E000007
	ds_read_b32 v79, v7 offset:17856                           // 000000030B38: D86C45C0 4F000007
	s_waitcnt lgkmcnt(0)                                       // 000000030B40: BF8CC07F
	v_mov_b32_e32 v39, 0                                       // 000000030B44: 7E4E0280
	v_add_f32_e32 v39, v64, v39                                // 000000030B48: 024E4F40
	v_add_f32_e32 v39, v65, v39                                // 000000030B4C: 024E4F41
	v_add_f32_e32 v39, v66, v39                                // 000000030B50: 024E4F42
	v_add_f32_e32 v39, v67, v39                                // 000000030B54: 024E4F43
	v_add_f32_e32 v39, v68, v39                                // 000000030B58: 024E4F44
	v_add_f32_e32 v39, v69, v39                                // 000000030B5C: 024E4F45
	v_add_f32_e32 v39, v70, v39                                // 000000030B60: 024E4F46
	v_add_f32_e32 v39, v71, v39                                // 000000030B64: 024E4F47
	v_add_f32_e32 v39, v72, v39                                // 000000030B68: 024E4F48
	v_add_f32_e32 v39, v73, v39                                // 000000030B6C: 024E4F49
	v_add_f32_e32 v39, v74, v39                                // 000000030B70: 024E4F4A
	v_add_f32_e32 v39, v75, v39                                // 000000030B74: 024E4F4B
	v_add_f32_e32 v39, v76, v39                                // 000000030B78: 024E4F4C
	v_add_f32_e32 v39, v77, v39                                // 000000030B7C: 024E4F4D
	v_add_f32_e32 v39, v78, v39                                // 000000030B80: 024E4F4E
	v_add_f32_e32 v39, v79, v39                                // 000000030B84: 024E4F4F
	s_nop 1                                                    // 000000030B88: BF800001
	v_rcp_f32_e32 v39, v39                                     // 000000030B8C: 7E4E4527
	s_nop 1                                                    // 000000030B90: BF800001
	v_mul_f32_e32 v216, v39, v216                              // 000000030B94: 0BB1B127
	v_mul_f32_e32 v217, v39, v217                              // 000000030B98: 0BB3B327
	v_mul_f32_e32 v218, v39, v218                              // 000000030B9C: 0BB5B527
	v_mul_f32_e32 v219, v39, v219                              // 000000030BA0: 0BB7B727
	v_mul_f32_e32 v220, v39, v220                              // 000000030BA4: 0BB9B927
	v_mul_f32_e32 v221, v39, v221                              // 000000030BA8: 0BBBBB27
	v_mul_f32_e32 v222, v39, v222                              // 000000030BAC: 0BBDBD27
	v_mul_f32_e32 v223, v39, v223                              // 000000030BB0: 0BBFBF27
	v_mov_b32_e32 v19, 0xffff0000                              // 000000030BB4: 7E2602FF FFFF0000
	v_mov_b32_e32 v20, 0x7fff0000                              // 000000030BBC: 7E2802FF 7FFF0000
	v_mov_b32_e32 v21, 0x7fff                                  // 000000030BC4: 7E2A02FF 00007FFF
	v_cvt_pkrtz_f16_f32 v64, v216, v217                        // 000000030BCC: D2960040 0003B3D8
	v_mov_b32_e32 v216, v64                                    // 000000030BD4: 7FB00340
	v_cvt_pkrtz_f16_f32 v64, v218, v219                        // 000000030BD8: D2960040 0003B7DA
	v_mov_b32_e32 v217, v64                                    // 000000030BE0: 7FB20340
	v_cvt_pkrtz_f16_f32 v64, v220, v221                        // 000000030BE4: D2960040 0003BBDC
	v_mov_b32_e32 v218, v64                                    // 000000030BEC: 7FB40340
	v_cvt_pkrtz_f16_f32 v64, v222, v223                        // 000000030BF0: D2960040 0003BFDE
	v_mov_b32_e32 v219, v64                                    // 000000030BF8: 7FB60340
	s_nop 1                                                    // 000000030BFC: BF800001
	v_lshrrev_b32_e32 v64, 4, v0                               // 000000030C00: 20800084
	v_mul_i32_i24_e32 v68, 34, v64                             // 000000030C04: 0C8880A2
	v_and_b32_e32 v64, 15, v0                                  // 000000030C08: 2680008F
	v_mul_i32_i24_e32 v65, 2, v64                              // 000000030C0C: 0C828082
	v_add_u32_e32 v68, v65, v68                                // 000000030C10: 68888941
	s_mul_i32 s60, s7, 0x88                                    // 000000030C14: 923CFF07 00000088
	v_add_u32_e32 v68, s60, v68                                // 000000030C1C: 6888883C
	v_lshlrev_b32_e32 v68, 2, v68                              // 000000030C20: 24888882
	ds_write_b64 v68, v[216:217] offset:41472                  // 000000030C24: D89AA200 0000D844
	ds_write_b64 v68, v[218:219] offset:43648                  // 000000030C2C: D89AAA80 0000DA44
	v_lshrrev_b32_e32 v64, 1, v0                               // 000000030C34: 20800081
	v_mul_i32_i24_e32 v68, 34, v64                             // 000000030C38: 0C8880A2
	v_and_b32_e32 v65, 1, v0                                   // 000000030C3C: 26820081
	v_add_u32_e32 v68, v65, v68                                // 000000030C40: 68888941
	s_mul_i32 s60, s7, 2                                       // 000000030C44: 923C8207
	v_add_u32_e32 v68, s60, v68                                // 000000030C48: 6888883C
	v_lshlrev_b32_e32 v68, 2, v68                              // 000000030C4C: 24888882
	s_waitcnt lgkmcnt(0)                                       // 000000030C50: BF8CC07F
	s_barrier                                                  // 000000030C54: BF8A0000
	ds_read_b32 v216, v68 offset:41472                         // 000000030C58: D86CA200 D8000044
	ds_read_b32 v217, v68 offset:41504                         // 000000030C60: D86CA220 D9000044
	ds_read_b32 v218, v68 offset:41536                         // 000000030C68: D86CA240 DA000044
	ds_read_b32 v219, v68 offset:41568                         // 000000030C70: D86CA260 DB000044
	s_mul_i32 s60, s7, 0x100                                   // 000000030C78: 923CFF07 00000100
	v_lshlrev_b32_e32 v64, 2, v0                               // 000000030C80: 24800082
	v_add_u32_e64 v64, v64, s60                                // 000000030C84: D1340040 00007940
	s_waitcnt lgkmcnt(0)                                       // 000000030C8C: BF8CC07F
	buffer_store_dword v216, v64, s[8:11], 0 offen             // 000000030C90: E0701000 8002D840
	buffer_store_dword v217, v64, s[8:11], 0 offen offset:1024 // 000000030C98: E0701400 8002D940
	buffer_store_dword v218, v64, s[8:11], 0 offen offset:2048 // 000000030CA0: E0701800 8002DA40
	buffer_store_dword v219, v64, s[8:11], 0 offen offset:3072 // 000000030CA8: E0701C00 8002DB40
	s_add_u32 s8, s75, s8                                      // 000000030CB0: 8008084B
	s_addc_u32 s9, 0, s9                                       // 000000030CB4: 82090980
	v_mul_f32_e32 v224, v51, v224                              // 000000030CB8: 0BC1C133
	v_mul_f32_e32 v225, v51, v225                              // 000000030CBC: 0BC3C333
	v_mul_f32_e32 v226, v51, v226                              // 000000030CC0: 0BC5C533
	v_mul_f32_e32 v227, v51, v227                              // 000000030CC4: 0BC7C733
	v_mul_f32_e32 v228, v51, v228                              // 000000030CC8: 0BC9C933
	v_mul_f32_e32 v229, v51, v229                              // 000000030CCC: 0BCBCB33
	v_mul_f32_e32 v230, v51, v230                              // 000000030CD0: 0BCDCD33
	v_mul_f32_e32 v231, v51, v231                              // 000000030CD4: 0BCFCF33
	v_cvt_f32_i32_e32 v192, v192                               // 000000030CD8: 7F800BC0
	v_cvt_f32_i32_e32 v193, v193                               // 000000030CDC: 7F820BC1
	v_cvt_f32_i32_e32 v194, v194                               // 000000030CE0: 7F840BC2
	v_cvt_f32_i32_e32 v195, v195                               // 000000030CE4: 7F860BC3
	v_cvt_f32_i32_e32 v196, v196                               // 000000030CE8: 7F880BC4
	v_cvt_f32_i32_e32 v197, v197                               // 000000030CEC: 7F8A0BC5
	v_cvt_f32_i32_e32 v198, v198                               // 000000030CF0: 7F8C0BC6
	v_cvt_f32_i32_e32 v199, v199                               // 000000030CF4: 7F8E0BC7
	v_mul_f32_e32 v192, v46, v192                              // 000000030CF8: 0B81812E
	v_mul_f32_e32 v193, v46, v193                              // 000000030CFC: 0B83832E
	v_mul_f32_e32 v194, v46, v194                              // 000000030D00: 0B85852E
	v_mul_f32_e32 v195, v46, v195                              // 000000030D04: 0B87872E
	v_mul_f32_e32 v196, v46, v196                              // 000000030D08: 0B89892E
	v_mul_f32_e32 v197, v46, v197                              // 000000030D0C: 0B8B8B2E
	v_mul_f32_e32 v198, v46, v198                              // 000000030D10: 0B8D8D2E
	v_mul_f32_e32 v199, v46, v199                              // 000000030D14: 0B8F8F2E
	v_add_f32_e32 v224, v224, v192                             // 000000030D18: 03C181E0
	v_add_f32_e32 v225, v225, v193                             // 000000030D1C: 03C383E1
	v_add_f32_e32 v226, v226, v194                             // 000000030D20: 03C585E2
	v_add_f32_e32 v227, v227, v195                             // 000000030D24: 03C787E3
	v_add_f32_e32 v228, v228, v196                             // 000000030D28: 03C989E4
	v_add_f32_e32 v229, v229, v197                             // 000000030D2C: 03CB8BE5
	v_add_f32_e32 v230, v230, v198                             // 000000030D30: 03CD8DE6
	v_add_f32_e32 v231, v231, v199                             // 000000030D34: 03CF8FE7
	ds_write_b32 v8, v40 offset:16896                          // 000000030D38: D81A4200 00002808
	s_waitcnt lgkmcnt(0)                                       // 000000030D40: BF8CC07F
	s_barrier                                                  // 000000030D44: BF8A0000
	ds_read_b32 v64, v7 offset:16896                           // 000000030D48: D86C4200 40000007
	ds_read_b32 v65, v7 offset:16960                           // 000000030D50: D86C4240 41000007
	ds_read_b32 v66, v7 offset:17024                           // 000000030D58: D86C4280 42000007
	ds_read_b32 v67, v7 offset:17088                           // 000000030D60: D86C42C0 43000007
	ds_read_b32 v68, v7 offset:17152                           // 000000030D68: D86C4300 44000007
	ds_read_b32 v69, v7 offset:17216                           // 000000030D70: D86C4340 45000007
	ds_read_b32 v70, v7 offset:17280                           // 000000030D78: D86C4380 46000007
	ds_read_b32 v71, v7 offset:17344                           // 000000030D80: D86C43C0 47000007
	ds_read_b32 v72, v7 offset:17408                           // 000000030D88: D86C4400 48000007
	ds_read_b32 v73, v7 offset:17472                           // 000000030D90: D86C4440 49000007
	ds_read_b32 v74, v7 offset:17536                           // 000000030D98: D86C4480 4A000007
	ds_read_b32 v75, v7 offset:17600                           // 000000030DA0: D86C44C0 4B000007
	ds_read_b32 v76, v7 offset:17664                           // 000000030DA8: D86C4500 4C000007
	ds_read_b32 v77, v7 offset:17728                           // 000000030DB0: D86C4540 4D000007
	ds_read_b32 v78, v7 offset:17792                           // 000000030DB8: D86C4580 4E000007
	ds_read_b32 v79, v7 offset:17856                           // 000000030DC0: D86C45C0 4F000007
	s_waitcnt lgkmcnt(0)                                       // 000000030DC8: BF8CC07F
	v_mov_b32_e32 v40, 0                                       // 000000030DCC: 7E500280
	v_add_f32_e32 v40, v64, v40                                // 000000030DD0: 02505140
	v_add_f32_e32 v40, v65, v40                                // 000000030DD4: 02505141
	v_add_f32_e32 v40, v66, v40                                // 000000030DD8: 02505142
	v_add_f32_e32 v40, v67, v40                                // 000000030DDC: 02505143
	v_add_f32_e32 v40, v68, v40                                // 000000030DE0: 02505144
	v_add_f32_e32 v40, v69, v40                                // 000000030DE4: 02505145
	v_add_f32_e32 v40, v70, v40                                // 000000030DE8: 02505146
	v_add_f32_e32 v40, v71, v40                                // 000000030DEC: 02505147
	v_add_f32_e32 v40, v72, v40                                // 000000030DF0: 02505148
	v_add_f32_e32 v40, v73, v40                                // 000000030DF4: 02505149
	v_add_f32_e32 v40, v74, v40                                // 000000030DF8: 0250514A
	v_add_f32_e32 v40, v75, v40                                // 000000030DFC: 0250514B
	v_add_f32_e32 v40, v76, v40                                // 000000030E00: 0250514C
	v_add_f32_e32 v40, v77, v40                                // 000000030E04: 0250514D
	v_add_f32_e32 v40, v78, v40                                // 000000030E08: 0250514E
	v_add_f32_e32 v40, v79, v40                                // 000000030E0C: 0250514F
	s_nop 1                                                    // 000000030E10: BF800001
	v_rcp_f32_e32 v40, v40                                     // 000000030E14: 7E504528
	s_nop 1                                                    // 000000030E18: BF800001
	v_mul_f32_e32 v224, v40, v224                              // 000000030E1C: 0BC1C128
	v_mul_f32_e32 v225, v40, v225                              // 000000030E20: 0BC3C328
	v_mul_f32_e32 v226, v40, v226                              // 000000030E24: 0BC5C528
	v_mul_f32_e32 v227, v40, v227                              // 000000030E28: 0BC7C728
	v_mul_f32_e32 v228, v40, v228                              // 000000030E2C: 0BC9C928
	v_mul_f32_e32 v229, v40, v229                              // 000000030E30: 0BCBCB28
	v_mul_f32_e32 v230, v40, v230                              // 000000030E34: 0BCDCD28
	v_mul_f32_e32 v231, v40, v231                              // 000000030E38: 0BCFCF28
	v_mov_b32_e32 v19, 0xffff0000                              // 000000030E3C: 7E2602FF FFFF0000
	v_mov_b32_e32 v20, 0x7fff0000                              // 000000030E44: 7E2802FF 7FFF0000
	v_mov_b32_e32 v21, 0x7fff                                  // 000000030E4C: 7E2A02FF 00007FFF
	v_cvt_pkrtz_f16_f32 v64, v224, v225                        // 000000030E54: D2960040 0003C3E0
	v_mov_b32_e32 v224, v64                                    // 000000030E5C: 7FC00340
	v_cvt_pkrtz_f16_f32 v64, v226, v227                        // 000000030E60: D2960040 0003C7E2
	v_mov_b32_e32 v225, v64                                    // 000000030E68: 7FC20340
	v_cvt_pkrtz_f16_f32 v64, v228, v229                        // 000000030E6C: D2960040 0003CBE4
	v_mov_b32_e32 v226, v64                                    // 000000030E74: 7FC40340
	v_cvt_pkrtz_f16_f32 v64, v230, v231                        // 000000030E78: D2960040 0003CFE6
	v_mov_b32_e32 v227, v64                                    // 000000030E80: 7FC60340
	s_nop 1                                                    // 000000030E84: BF800001
	v_lshrrev_b32_e32 v64, 4, v0                               // 000000030E88: 20800084
	v_mul_i32_i24_e32 v68, 34, v64                             // 000000030E8C: 0C8880A2
	v_and_b32_e32 v64, 15, v0                                  // 000000030E90: 2680008F
	v_mul_i32_i24_e32 v65, 2, v64                              // 000000030E94: 0C828082
	v_add_u32_e32 v68, v65, v68                                // 000000030E98: 68888941
	s_mul_i32 s60, s7, 0x88                                    // 000000030E9C: 923CFF07 00000088
	v_add_u32_e32 v68, s60, v68                                // 000000030EA4: 6888883C
	v_lshlrev_b32_e32 v68, 2, v68                              // 000000030EA8: 24888882
	ds_write_b64 v68, v[224:225] offset:41472                  // 000000030EAC: D89AA200 0000E044
	ds_write_b64 v68, v[226:227] offset:43648                  // 000000030EB4: D89AAA80 0000E244
	v_lshrrev_b32_e32 v64, 1, v0                               // 000000030EBC: 20800081
	v_mul_i32_i24_e32 v68, 34, v64                             // 000000030EC0: 0C8880A2
	v_and_b32_e32 v65, 1, v0                                   // 000000030EC4: 26820081
	v_add_u32_e32 v68, v65, v68                                // 000000030EC8: 68888941
	s_mul_i32 s60, s7, 2                                       // 000000030ECC: 923C8207
	v_add_u32_e32 v68, s60, v68                                // 000000030ED0: 6888883C
	v_lshlrev_b32_e32 v68, 2, v68                              // 000000030ED4: 24888882
	s_waitcnt lgkmcnt(0)                                       // 000000030ED8: BF8CC07F
	s_barrier                                                  // 000000030EDC: BF8A0000
	ds_read_b32 v224, v68 offset:41472                         // 000000030EE0: D86CA200 E0000044
	ds_read_b32 v225, v68 offset:41504                         // 000000030EE8: D86CA220 E1000044
	ds_read_b32 v226, v68 offset:41536                         // 000000030EF0: D86CA240 E2000044
	ds_read_b32 v227, v68 offset:41568                         // 000000030EF8: D86CA260 E3000044
	s_mul_i32 s60, s7, 0x100                                   // 000000030F00: 923CFF07 00000100
	v_lshlrev_b32_e32 v64, 2, v0                               // 000000030F08: 24800082
	v_add_u32_e64 v64, v64, s60                                // 000000030F0C: D1340040 00007940
	s_waitcnt lgkmcnt(0)                                       // 000000030F14: BF8CC07F
	buffer_store_dword v224, v64, s[8:11], 0 offen             // 000000030F18: E0701000 8002E040
	buffer_store_dword v225, v64, s[8:11], 0 offen offset:1024 // 000000030F20: E0701400 8002E140
	buffer_store_dword v226, v64, s[8:11], 0 offen offset:2048 // 000000030F28: E0701800 8002E240
	buffer_store_dword v227, v64, s[8:11], 0 offen offset:3072 // 000000030F30: E0701C00 8002E340
	s_add_u32 s8, s75, s8                                      // 000000030F38: 8008084B
	s_addc_u32 s9, 0, s9                                       // 000000030F3C: 82090980
	v_mul_f32_e32 v232, v52, v232                              // 000000030F40: 0BD1D134
	v_mul_f32_e32 v233, v52, v233                              // 000000030F44: 0BD3D334
	v_mul_f32_e32 v234, v52, v234                              // 000000030F48: 0BD5D534
	v_mul_f32_e32 v235, v52, v235                              // 000000030F4C: 0BD7D734
	v_mul_f32_e32 v236, v52, v236                              // 000000030F50: 0BD9D934
	v_mul_f32_e32 v237, v52, v237                              // 000000030F54: 0BDBDB34
	v_mul_f32_e32 v238, v52, v238                              // 000000030F58: 0BDDDD34
	v_mul_f32_e32 v239, v52, v239                              // 000000030F5C: 0BDFDF34
	v_cvt_f32_i32_e32 v200, v200                               // 000000030F60: 7F900BC8
	v_cvt_f32_i32_e32 v201, v201                               // 000000030F64: 7F920BC9
	v_cvt_f32_i32_e32 v202, v202                               // 000000030F68: 7F940BCA
	v_cvt_f32_i32_e32 v203, v203                               // 000000030F6C: 7F960BCB
	v_cvt_f32_i32_e32 v204, v204                               // 000000030F70: 7F980BCC
	v_cvt_f32_i32_e32 v205, v205                               // 000000030F74: 7F9A0BCD
	v_cvt_f32_i32_e32 v206, v206                               // 000000030F78: 7F9C0BCE
	v_cvt_f32_i32_e32 v207, v207                               // 000000030F7C: 7F9E0BCF
	v_mul_f32_e32 v200, v47, v200                              // 000000030F80: 0B91912F
	v_mul_f32_e32 v201, v47, v201                              // 000000030F84: 0B93932F
	v_mul_f32_e32 v202, v47, v202                              // 000000030F88: 0B95952F
	v_mul_f32_e32 v203, v47, v203                              // 000000030F8C: 0B97972F
	v_mul_f32_e32 v204, v47, v204                              // 000000030F90: 0B99992F
	v_mul_f32_e32 v205, v47, v205                              // 000000030F94: 0B9B9B2F
	v_mul_f32_e32 v206, v47, v206                              // 000000030F98: 0B9D9D2F
	v_mul_f32_e32 v207, v47, v207                              // 000000030F9C: 0B9F9F2F
	v_add_f32_e32 v232, v232, v200                             // 000000030FA0: 03D191E8
	v_add_f32_e32 v233, v233, v201                             // 000000030FA4: 03D393E9
	v_add_f32_e32 v234, v234, v202                             // 000000030FA8: 03D595EA
	v_add_f32_e32 v235, v235, v203                             // 000000030FAC: 03D797EB
	v_add_f32_e32 v236, v236, v204                             // 000000030FB0: 03D999EC
	v_add_f32_e32 v237, v237, v205                             // 000000030FB4: 03DB9BED
	v_add_f32_e32 v238, v238, v206                             // 000000030FB8: 03DD9DEE
	v_add_f32_e32 v239, v239, v207                             // 000000030FBC: 03DF9FEF
	ds_write_b32 v8, v41 offset:16896                          // 000000030FC0: D81A4200 00002908
	s_waitcnt lgkmcnt(0)                                       // 000000030FC8: BF8CC07F
	s_barrier                                                  // 000000030FCC: BF8A0000
	ds_read_b32 v64, v7 offset:16896                           // 000000030FD0: D86C4200 40000007
	ds_read_b32 v65, v7 offset:16960                           // 000000030FD8: D86C4240 41000007
	ds_read_b32 v66, v7 offset:17024                           // 000000030FE0: D86C4280 42000007
	ds_read_b32 v67, v7 offset:17088                           // 000000030FE8: D86C42C0 43000007
	ds_read_b32 v68, v7 offset:17152                           // 000000030FF0: D86C4300 44000007
	ds_read_b32 v69, v7 offset:17216                           // 000000030FF8: D86C4340 45000007
	ds_read_b32 v70, v7 offset:17280                           // 000000031000: D86C4380 46000007
	ds_read_b32 v71, v7 offset:17344                           // 000000031008: D86C43C0 47000007
	ds_read_b32 v72, v7 offset:17408                           // 000000031010: D86C4400 48000007
	ds_read_b32 v73, v7 offset:17472                           // 000000031018: D86C4440 49000007
	ds_read_b32 v74, v7 offset:17536                           // 000000031020: D86C4480 4A000007
	ds_read_b32 v75, v7 offset:17600                           // 000000031028: D86C44C0 4B000007
	ds_read_b32 v76, v7 offset:17664                           // 000000031030: D86C4500 4C000007
	ds_read_b32 v77, v7 offset:17728                           // 000000031038: D86C4540 4D000007
	ds_read_b32 v78, v7 offset:17792                           // 000000031040: D86C4580 4E000007
	ds_read_b32 v79, v7 offset:17856                           // 000000031048: D86C45C0 4F000007
	s_waitcnt lgkmcnt(0)                                       // 000000031050: BF8CC07F
	v_mov_b32_e32 v41, 0                                       // 000000031054: 7E520280
	v_add_f32_e32 v41, v64, v41                                // 000000031058: 02525340
	v_add_f32_e32 v41, v65, v41                                // 00000003105C: 02525341
	v_add_f32_e32 v41, v66, v41                                // 000000031060: 02525342
	v_add_f32_e32 v41, v67, v41                                // 000000031064: 02525343
	;; [unrolled: 1-line block ×3, first 2 shown]
	v_add_f32_e32 v41, v69, v41                                // 00000003106C: 02525345
	v_add_f32_e32 v41, v70, v41                                // 000000031070: 02525346
	v_add_f32_e32 v41, v71, v41                                // 000000031074: 02525347
	;; [unrolled: 1-line block ×3, first 2 shown]
	v_add_f32_e32 v41, v73, v41                                // 00000003107C: 02525349
	v_add_f32_e32 v41, v74, v41                                // 000000031080: 0252534A
	v_add_f32_e32 v41, v75, v41                                // 000000031084: 0252534B
	v_add_f32_e32 v41, v76, v41                                // 000000031088: 0252534C
	v_add_f32_e32 v41, v77, v41                                // 00000003108C: 0252534D
	v_add_f32_e32 v41, v78, v41                                // 000000031090: 0252534E
	v_add_f32_e32 v41, v79, v41                                // 000000031094: 0252534F
	s_nop 1                                                    // 000000031098: BF800001
	v_rcp_f32_e32 v41, v41                                     // 00000003109C: 7E524529
	s_nop 1                                                    // 0000000310A0: BF800001
	v_mul_f32_e32 v232, v41, v232                              // 0000000310A4: 0BD1D129
	v_mul_f32_e32 v233, v41, v233                              // 0000000310A8: 0BD3D329
	v_mul_f32_e32 v234, v41, v234                              // 0000000310AC: 0BD5D529
	v_mul_f32_e32 v235, v41, v235                              // 0000000310B0: 0BD7D729
	v_mul_f32_e32 v236, v41, v236                              // 0000000310B4: 0BD9D929
	v_mul_f32_e32 v237, v41, v237                              // 0000000310B8: 0BDBDB29
	v_mul_f32_e32 v238, v41, v238                              // 0000000310BC: 0BDDDD29
	v_mul_f32_e32 v239, v41, v239                              // 0000000310C0: 0BDFDF29
	v_mov_b32_e32 v19, 0xffff0000                              // 0000000310C4: 7E2602FF FFFF0000
	v_mov_b32_e32 v20, 0x7fff0000                              // 0000000310CC: 7E2802FF 7FFF0000
	v_mov_b32_e32 v21, 0x7fff                                  // 0000000310D4: 7E2A02FF 00007FFF
	v_cvt_pkrtz_f16_f32 v64, v232, v233                        // 0000000310DC: D2960040 0003D3E8
	v_mov_b32_e32 v232, v64                                    // 0000000310E4: 7FD00340
	v_cvt_pkrtz_f16_f32 v64, v234, v235                        // 0000000310E8: D2960040 0003D7EA
	v_mov_b32_e32 v233, v64                                    // 0000000310F0: 7FD20340
	v_cvt_pkrtz_f16_f32 v64, v236, v237                        // 0000000310F4: D2960040 0003DBEC
	v_mov_b32_e32 v234, v64                                    // 0000000310FC: 7FD40340
	v_cvt_pkrtz_f16_f32 v64, v238, v239                        // 000000031100: D2960040 0003DFEE
	v_mov_b32_e32 v235, v64                                    // 000000031108: 7FD60340
	s_nop 1                                                    // 00000003110C: BF800001
	v_lshrrev_b32_e32 v64, 4, v0                               // 000000031110: 20800084
	v_mul_i32_i24_e32 v68, 34, v64                             // 000000031114: 0C8880A2
	v_and_b32_e32 v64, 15, v0                                  // 000000031118: 2680008F
	v_mul_i32_i24_e32 v65, 2, v64                              // 00000003111C: 0C828082
	v_add_u32_e32 v68, v65, v68                                // 000000031120: 68888941
	s_mul_i32 s60, s7, 0x88                                    // 000000031124: 923CFF07 00000088
	v_add_u32_e32 v68, s60, v68                                // 00000003112C: 6888883C
	v_lshlrev_b32_e32 v68, 2, v68                              // 000000031130: 24888882
	ds_write_b64 v68, v[232:233] offset:41472                  // 000000031134: D89AA200 0000E844
	ds_write_b64 v68, v[234:235] offset:43648                  // 00000003113C: D89AAA80 0000EA44
	v_lshrrev_b32_e32 v64, 1, v0                               // 000000031144: 20800081
	v_mul_i32_i24_e32 v68, 34, v64                             // 000000031148: 0C8880A2
	v_and_b32_e32 v65, 1, v0                                   // 00000003114C: 26820081
	v_add_u32_e32 v68, v65, v68                                // 000000031150: 68888941
	s_mul_i32 s60, s7, 2                                       // 000000031154: 923C8207
	v_add_u32_e32 v68, s60, v68                                // 000000031158: 6888883C
	v_lshlrev_b32_e32 v68, 2, v68                              // 00000003115C: 24888882
	s_waitcnt lgkmcnt(0)                                       // 000000031160: BF8CC07F
	s_barrier                                                  // 000000031164: BF8A0000
	ds_read_b32 v232, v68 offset:41472                         // 000000031168: D86CA200 E8000044
	ds_read_b32 v233, v68 offset:41504                         // 000000031170: D86CA220 E9000044
	ds_read_b32 v234, v68 offset:41536                         // 000000031178: D86CA240 EA000044
	ds_read_b32 v235, v68 offset:41568                         // 000000031180: D86CA260 EB000044
	s_mul_i32 s60, s7, 0x100                                   // 000000031188: 923CFF07 00000100
	v_lshlrev_b32_e32 v64, 2, v0                               // 000000031190: 24800082
	v_add_u32_e64 v64, v64, s60                                // 000000031194: D1340040 00007940
	s_waitcnt lgkmcnt(0)                                       // 00000003119C: BF8CC07F
	buffer_store_dword v232, v64, s[8:11], 0 offen             // 0000000311A0: E0701000 8002E840
	buffer_store_dword v233, v64, s[8:11], 0 offen offset:1024 // 0000000311A8: E0701400 8002E940
	buffer_store_dword v234, v64, s[8:11], 0 offen offset:2048 // 0000000311B0: E0701800 8002EA40
	buffer_store_dword v235, v64, s[8:11], 0 offen offset:3072 // 0000000311B8: E0701C00 8002EB40
	s_add_u32 s8, s75, s8                                      // 0000000311C0: 8008084B
	s_addc_u32 s9, 0, s9                                       // 0000000311C4: 82090980
	s_branch label_BBF3                                        // 0000000311C8: BF820000

00000000000311cc <label_BBF3>:
	s_waitcnt vmcnt(0) expcnt(0) lgkmcnt(0)                    // 0000000311CC: BF8C0000
	s_endpgm                                                   // 0000000311D0: BF810000
